;; amdgpu-corpus repo=ROCm/rocFFT kind=compiled arch=gfx1201 opt=O3
	.text
	.amdgcn_target "amdgcn-amd-amdhsa--gfx1201"
	.amdhsa_code_object_version 6
	.protected	bluestein_single_fwd_len1001_dim1_sp_op_CI_CI ; -- Begin function bluestein_single_fwd_len1001_dim1_sp_op_CI_CI
	.globl	bluestein_single_fwd_len1001_dim1_sp_op_CI_CI
	.p2align	8
	.type	bluestein_single_fwd_len1001_dim1_sp_op_CI_CI,@function
bluestein_single_fwd_len1001_dim1_sp_op_CI_CI: ; @bluestein_single_fwd_len1001_dim1_sp_op_CI_CI
; %bb.0:
	s_load_b128 s[8:11], s[0:1], 0x28
	v_mul_u32_u24_e32 v1, 0x2d1, v0
	v_mov_b32_e32 v81, 0
	s_mov_b32 s2, exec_lo
	s_delay_alu instid0(VALU_DEP_2) | instskip(NEXT) | instid1(VALU_DEP_1)
	v_lshrrev_b32_e32 v1, 16, v1
	v_lshl_add_u32 v80, ttmp9, 1, v1
	s_wait_kmcnt 0x0
	s_delay_alu instid0(VALU_DEP_1)
	v_cmpx_gt_u64_e64 s[8:9], v[80:81]
	s_cbranch_execz .LBB0_23
; %bb.1:
	v_mul_lo_u16 v2, 0x5b, v1
	s_clause 0x1
	s_load_b64 s[8:9], s[0:1], 0x0
	s_load_b64 s[12:13], s[0:1], 0x38
	v_and_b32_e32 v1, 1, v1
	v_sub_nc_u16 v0, v0, v2
	s_delay_alu instid0(VALU_DEP_2) | instskip(NEXT) | instid1(VALU_DEP_2)
	v_cmp_eq_u32_e32 vcc_lo, 1, v1
	v_and_b32_e32 v86, 0xffff, v0
	v_cndmask_b32_e64 v52, 0, 0x3e9, vcc_lo
	v_cmp_gt_u16_e32 vcc_lo, 0x4d, v0
	s_delay_alu instid0(VALU_DEP_3) | instskip(NEXT) | instid1(VALU_DEP_3)
	v_lshlrev_b32_e32 v85, 3, v86
	v_lshlrev_b32_e32 v87, 3, v52
	s_and_saveexec_b32 s3, vcc_lo
	s_cbranch_execz .LBB0_3
; %bb.2:
	s_load_b64 s[4:5], s[0:1], 0x18
	s_delay_alu instid0(VALU_DEP_1) | instskip(SKIP_1) | instid1(VALU_DEP_2)
	v_add_nc_u32_e32 v55, v87, v85
	v_lshl_add_u32 v56, v86, 3, v87
	v_add_nc_u32_e32 v58, 0x800, v55
	s_wait_kmcnt 0x0
	s_load_b128 s[4:7], s[4:5], 0x0
	s_wait_kmcnt 0x0
	v_mad_co_u64_u32 v[0:1], null, s6, v80, 0
	v_mad_co_u64_u32 v[2:3], null, s4, v86, 0
	s_delay_alu instid0(VALU_DEP_1) | instskip(NEXT) | instid1(VALU_DEP_1)
	v_mad_co_u64_u32 v[4:5], null, s7, v80, v[1:2]
	v_mad_co_u64_u32 v[5:6], null, s5, v86, v[3:4]
	v_mov_b32_e32 v1, v4
	s_mul_u64 s[4:5], s[4:5], 0x268
	s_delay_alu instid0(VALU_DEP_1) | instskip(NEXT) | instid1(VALU_DEP_3)
	v_lshlrev_b64_e32 v[0:1], 3, v[0:1]
	v_mov_b32_e32 v3, v5
	s_delay_alu instid0(VALU_DEP_2) | instskip(NEXT) | instid1(VALU_DEP_2)
	v_add_co_u32 v10, s2, s10, v0
	v_lshlrev_b64_e32 v[2:3], 3, v[2:3]
	s_delay_alu instid0(VALU_DEP_4)
	v_add_co_ci_u32_e64 v11, s2, s11, v1, s2
	s_clause 0xa
	global_load_b64 v[0:1], v85, s[8:9]
	global_load_b64 v[4:5], v85, s[8:9] offset:616
	global_load_b64 v[6:7], v85, s[8:9] offset:1232
	global_load_b64 v[8:9], v85, s[8:9] offset:1848
	global_load_b64 v[12:13], v85, s[8:9] offset:2464
	global_load_b64 v[14:15], v85, s[8:9] offset:3080
	global_load_b64 v[16:17], v85, s[8:9] offset:3696
	global_load_b64 v[18:19], v85, s[8:9] offset:4312
	global_load_b64 v[22:23], v85, s[8:9] offset:4928
	global_load_b64 v[24:25], v85, s[8:9] offset:5544
	global_load_b64 v[26:27], v85, s[8:9] offset:6160
	v_add_co_u32 v2, s2, v10, v2
	s_wait_alu 0xf1ff
	v_add_co_ci_u32_e64 v3, s2, v11, v3, s2
	s_wait_alu 0xfffe
	s_delay_alu instid0(VALU_DEP_2) | instskip(SKIP_1) | instid1(VALU_DEP_2)
	v_add_co_u32 v10, s2, v2, s4
	s_wait_alu 0xf1ff
	v_add_co_ci_u32_e64 v11, s2, s5, v3, s2
	global_load_b64 v[2:3], v[2:3], off
	v_add_co_u32 v20, s2, v10, s4
	s_wait_alu 0xf1ff
	v_add_co_ci_u32_e64 v21, s2, s5, v11, s2
	s_delay_alu instid0(VALU_DEP_2) | instskip(SKIP_1) | instid1(VALU_DEP_2)
	v_add_co_u32 v28, s2, v20, s4
	s_wait_alu 0xf1ff
	v_add_co_ci_u32_e64 v29, s2, s5, v21, s2
	s_delay_alu instid0(VALU_DEP_2) | instskip(SKIP_1) | instid1(VALU_DEP_2)
	v_add_co_u32 v30, s2, v28, s4
	s_wait_alu 0xf1ff
	v_add_co_ci_u32_e64 v31, s2, s5, v29, s2
	s_clause 0x2
	global_load_b64 v[10:11], v[10:11], off
	global_load_b64 v[20:21], v[20:21], off
	global_load_b64 v[28:29], v[28:29], off
	v_add_co_u32 v32, s2, v30, s4
	s_wait_alu 0xf1ff
	v_add_co_ci_u32_e64 v33, s2, s5, v31, s2
	global_load_b64 v[30:31], v[30:31], off
	v_add_co_u32 v34, s2, v32, s4
	s_wait_alu 0xf1ff
	v_add_co_ci_u32_e64 v35, s2, s5, v33, s2
	global_load_b64 v[32:33], v[32:33], off
	;; [unrolled: 4-line block ×7, first 2 shown]
	v_add_co_u32 v46, s2, v44, s4
	s_wait_alu 0xf1ff
	v_add_co_ci_u32_e64 v47, s2, s5, v45, s2
	global_load_b64 v[48:49], v85, s[8:9] offset:6776
	global_load_b64 v[44:45], v[44:45], off
	global_load_b64 v[50:51], v85, s[8:9] offset:7392
	global_load_b64 v[46:47], v[46:47], off
	s_wait_loadcnt 0xe
	v_mul_f32_e32 v54, v2, v1
	v_mul_f32_e32 v53, v3, v1
	s_delay_alu instid0(VALU_DEP_2) | instskip(NEXT) | instid1(VALU_DEP_2)
	v_fma_f32 v54, v3, v0, -v54
	v_fmac_f32_e32 v53, v2, v0
	s_wait_loadcnt 0xd
	v_mul_f32_e32 v1, v11, v5
	v_mul_f32_e32 v2, v10, v5
	s_wait_loadcnt 0xb
	v_mul_f32_e32 v0, v29, v9
	v_mul_f32_e32 v5, v21, v7
	;; [unrolled: 1-line block ×3, first 2 shown]
	v_fmac_f32_e32 v1, v10, v4
	v_fma_f32 v2, v11, v4, -v2
	v_dual_fmac_f32 v0, v28, v8 :: v_dual_add_nc_u32 v57, 0x400, v55
	v_fmac_f32_e32 v5, v20, v6
	v_fma_f32 v6, v21, v6, -v7
	ds_store_b64 v56, v[53:54]
	s_wait_loadcnt 0x9
	v_mul_f32_e32 v4, v33, v15
	v_add_nc_u32_e32 v59, 0x1000, v55
	v_add_nc_u32_e32 v20, 0x1400, v55
	s_delay_alu instid0(VALU_DEP_3)
	v_dual_fmac_f32 v4, v32, v14 :: v_dual_add_nc_u32 v21, 0x1800, v55
	ds_store_2addr_b64 v55, v[1:2], v[5:6] offset0:77 offset1:154
	v_mul_f32_e32 v2, v31, v13
	s_wait_loadcnt 0x8
	v_mul_f32_e32 v6, v35, v17
	v_mul_f32_e32 v3, v28, v9
	;; [unrolled: 1-line block ×3, first 2 shown]
	v_fmac_f32_e32 v2, v30, v12
	s_delay_alu instid0(VALU_DEP_4) | instskip(NEXT) | instid1(VALU_DEP_4)
	v_fmac_f32_e32 v6, v34, v16
	v_fma_f32 v1, v29, v8, -v3
	s_wait_loadcnt 0x6
	v_mul_f32_e32 v10, v39, v23
	v_dual_mul_f32 v8, v37, v19 :: v_dual_mul_f32 v5, v30, v13
	v_mul_f32_e32 v9, v36, v19
	v_fma_f32 v7, v35, v16, -v7
	s_delay_alu instid0(VALU_DEP_4) | instskip(NEXT) | instid1(VALU_DEP_4)
	v_fmac_f32_e32 v10, v38, v22
	v_fmac_f32_e32 v8, v36, v18
	v_fma_f32 v3, v31, v12, -v5
	s_wait_loadcnt 0x5
	v_dual_mul_f32 v5, v32, v15 :: v_dual_mul_f32 v12, v41, v25
	v_mul_f32_e32 v13, v40, v25
	v_mul_f32_e32 v11, v38, v23
	s_wait_loadcnt 0x2
	v_dual_mul_f32 v15, v42, v27 :: v_dual_mul_f32 v16, v45, v49
	v_fma_f32 v5, v33, v14, -v5
	v_mul_f32_e32 v14, v43, v27
	v_fma_f32 v9, v37, v18, -v9
	s_wait_loadcnt 0x0
	v_dual_mul_f32 v17, v44, v49 :: v_dual_mul_f32 v18, v47, v51
	v_dual_mul_f32 v19, v46, v51 :: v_dual_fmac_f32 v16, v44, v48
	v_fmac_f32_e32 v14, v42, v26
	v_fmac_f32_e32 v12, v40, v24
	v_fma_f32 v11, v39, v22, -v11
	v_fma_f32 v13, v41, v24, -v13
	;; [unrolled: 1-line block ×4, first 2 shown]
	v_fmac_f32_e32 v18, v46, v50
	v_fma_f32 v19, v47, v50, -v19
	ds_store_2addr_b64 v57, v[0:1], v[2:3] offset0:103 offset1:180
	ds_store_2addr_b64 v58, v[4:5], v[6:7] offset0:129 offset1:206
	;; [unrolled: 1-line block ×5, first 2 shown]
.LBB0_3:
	s_or_b32 exec_lo, exec_lo, s3
	v_mov_b32_e32 v0, 0
	v_mov_b32_e32 v1, 0
	global_wb scope:SCOPE_SE
	s_wait_dscnt 0x0
	s_wait_kmcnt 0x0
	s_barrier_signal -1
	s_barrier_wait -1
	global_inv scope:SCOPE_SE
                                        ; implicit-def: $vgpr4
                                        ; implicit-def: $vgpr26
                                        ; implicit-def: $vgpr10
                                        ; implicit-def: $vgpr14
                                        ; implicit-def: $vgpr18
                                        ; implicit-def: $vgpr22
	s_and_saveexec_b32 s2, vcc_lo
	s_cbranch_execz .LBB0_5
; %bb.4:
	v_lshl_add_u32 v24, v52, 3, v85
	s_delay_alu instid0(VALU_DEP_1)
	v_add_nc_u32_e32 v4, 0x800, v24
	v_add_nc_u32_e32 v5, 0xc00, v24
	;; [unrolled: 1-line block ×4, first 2 shown]
	ds_load_2addr_b64 v[0:3], v24 offset1:77
	ds_load_2addr_b64 v[20:23], v24 offset0:154 offset1:231
	ds_load_2addr_b64 v[16:19], v4 offset0:52 offset1:129
	;; [unrolled: 1-line block ×5, first 2 shown]
	ds_load_b64 v[26:27], v24 offset:7392
.LBB0_5:
	s_wait_alu 0xfffe
	s_or_b32 exec_lo, exec_lo, s2
	s_wait_dscnt 0x0
	v_dual_sub_f32 v42, v3, v27 :: v_dual_sub_f32 v43, v2, v26
	v_dual_add_f32 v73, v26, v2 :: v_dual_add_f32 v74, v27, v3
	s_clause 0x1
	s_load_b64 s[4:5], s[0:1], 0x20
	s_load_b64 s[2:3], s[0:1], 0x8
	v_dual_mul_f32 v28, 0xbeedf032, v42 :: v_dual_mul_f32 v29, 0xbeedf032, v43
	v_dual_mul_f32 v32, 0xbf52af12, v42 :: v_dual_mul_f32 v33, 0xbf52af12, v43
	v_dual_mul_f32 v48, 0xbf7e222b, v43 :: v_dual_add_f32 v79, v6, v20
	s_delay_alu instid0(VALU_DEP_3) | instskip(SKIP_1) | instid1(VALU_DEP_4)
	v_fma_f32 v25, 0x3f62ad3f, v74, -v29
	v_mul_f32_e32 v36, 0xbf7e222b, v42
	v_fma_f32 v31, 0x3f116cb1, v74, -v33
	v_fmamk_f32 v24, v73, 0x3f62ad3f, v28
	v_sub_f32_e32 v45, v21, v7
	v_dual_add_f32 v25, v25, v1 :: v_dual_mul_f32 v58, 0xbf6f5d39, v43
	s_delay_alu instid0(VALU_DEP_4) | instskip(SKIP_4) | instid1(VALU_DEP_4)
	v_add_f32_e32 v35, v31, v1
	v_fma_f32 v31, 0x3df6dbef, v74, -v48
	v_fmamk_f32 v30, v73, 0x3f116cb1, v32
	v_add_f32_e32 v24, v24, v0
	v_mul_f32_e32 v54, 0xbf6f5d39, v42
	v_dual_sub_f32 v46, v20, v6 :: v_dual_add_f32 v39, v31, v1
	s_delay_alu instid0(VALU_DEP_4) | instskip(SKIP_1) | instid1(VALU_DEP_4)
	v_add_f32_e32 v34, v30, v0
	v_fma_f32 v31, 0xbeb58ec6, v74, -v58
	v_fmamk_f32 v37, v73, 0xbeb58ec6, v54
	v_fmamk_f32 v30, v73, 0x3df6dbef, v36
	v_mul_f32_e32 v53, 0xbe750f2a, v45
	global_wb scope:SCOPE_SE
	v_dual_add_f32 v41, v31, v1 :: v_dual_add_f32 v40, v37, v0
	v_add_f32_e32 v38, v30, v0
	v_dual_mul_f32 v30, 0xbf52af12, v45 :: v_dual_mul_f32 v31, 0xbf52af12, v46
	v_fmamk_f32 v55, v79, 0xbf788fa5, v53
	s_wait_kmcnt 0x0
	s_barrier_signal -1
	s_barrier_wait -1
	v_fmamk_f32 v37, v79, 0x3f116cb1, v30
	v_dual_sub_f32 v89, v22, v4 :: v_dual_add_f32 v38, v55, v38
	v_add_f32_e32 v88, v4, v22
	global_inv scope:SCOPE_SE
	v_dual_add_f32 v24, v37, v24 :: v_dual_mul_f32 v37, 0xbf6f5d39, v45
	v_mul_f32_e32 v67, 0x3f6f5d39, v89
	v_dual_mul_f32 v78, 0x3eedf032, v89 :: v_dual_sub_f32 v115, v17, v11
	s_delay_alu instid0(VALU_DEP_3) | instskip(SKIP_3) | instid1(VALU_DEP_4)
	v_dual_sub_f32 v116, v16, v10 :: v_dual_fmamk_f32 v49, v79, 0xbeb58ec6, v37
	v_dual_add_f32 v84, v7, v21 :: v_dual_mul_f32 v59, 0xbe750f2a, v46
	v_mul_f32_e32 v50, 0xbf6f5d39, v46
	v_mul_f32_e32 v72, 0x3f29c268, v46
	v_dual_mul_f32 v76, 0xbf29c268, v43 :: v_dual_add_f32 v49, v49, v34
	s_delay_alu instid0(VALU_DEP_4) | instskip(NEXT) | instid1(VALU_DEP_4)
	v_fma_f32 v47, 0x3f116cb1, v84, -v31
	v_fma_f32 v51, 0xbeb58ec6, v84, -v50
	v_mul_f32_e32 v70, 0xbf29c268, v42
	v_fma_f32 v57, 0xbf3f9e67, v84, -v72
	v_fma_f32 v109, 0xbf3f9e67, v74, -v76
	v_add_f32_e32 v25, v47, v25
	v_add_f32_e32 v51, v51, v35
	v_fma_f32 v47, 0xbf788fa5, v84, -v59
	v_fmamk_f32 v44, v73, 0xbf3f9e67, v70
	v_mul_f32_e32 v62, 0x3f29c268, v45
	v_mul_f32_e32 v35, 0xbf7e222b, v89
	v_add_f32_e32 v41, v57, v41
	v_add_f32_e32 v39, v47, v39
	v_sub_f32_e32 v47, v23, v5
	v_dual_add_f32 v109, v109, v1 :: v_dual_add_f32 v94, v10, v16
	v_sub_f32_e32 v121, v19, v9
	v_mul_f32_e32 v91, 0xbf7e222b, v115
	s_delay_alu instid0(VALU_DEP_4) | instskip(SKIP_2) | instid1(VALU_DEP_3)
	v_mul_f32_e32 v55, 0xbe750f2a, v47
	v_add_f32_e32 v90, v5, v23
	v_dual_mul_f32 v71, 0x3eedf032, v47 :: v_dual_add_f32 v98, v8, v18
	v_dual_add_f32 v100, v9, v19 :: v_dual_fmamk_f32 v57, v88, 0xbf788fa5, v55
	s_delay_alu instid0(VALU_DEP_3) | instskip(SKIP_4) | instid1(VALU_DEP_4)
	v_fma_f32 v61, 0x3df6dbef, v90, -v35
	v_fmamk_f32 v56, v79, 0xbf3f9e67, v62
	v_mul_f32_e32 v34, 0xbf7e222b, v47
	v_fma_f32 v63, 0xbeb58ec6, v90, -v67
	v_add_f32_e32 v57, v57, v49
	v_dual_add_f32 v25, v61, v25 :: v_dual_add_f32 v40, v56, v40
	v_mul_f32_e32 v56, 0xbe750f2a, v89
	s_delay_alu instid0(VALU_DEP_4) | instskip(SKIP_2) | instid1(VALU_DEP_4)
	v_dual_fmamk_f32 v60, v88, 0x3df6dbef, v34 :: v_dual_add_f32 v39, v63, v39
	v_mul_f32_e32 v61, 0x3f6f5d39, v47
	v_mul_f32_e32 v63, 0x3f29c268, v115
	v_fma_f32 v49, 0xbf788fa5, v90, -v56
	s_delay_alu instid0(VALU_DEP_4) | instskip(SKIP_2) | instid1(VALU_DEP_4)
	v_add_f32_e32 v24, v60, v24
	v_add_f32_e32 v96, v11, v17
	v_dual_mul_f32 v68, 0x3eedf032, v115 :: v_dual_mul_f32 v81, 0x3eedf032, v116
	v_add_f32_e32 v65, v49, v51
	v_fma_f32 v51, 0x3f62ad3f, v90, -v78
	v_fmamk_f32 v60, v88, 0xbeb58ec6, v61
	v_fmamk_f32 v49, v88, 0x3f62ad3f, v71
	v_mul_f32_e32 v93, 0xbf7e222b, v116
	v_mul_f32_e32 v127, 0x3f52af12, v116
	v_add_f32_e32 v41, v51, v41
	v_mul_f32_e32 v51, 0xbf6f5d39, v116
	v_dual_add_f32 v40, v49, v40 :: v_dual_mul_f32 v49, 0xbf6f5d39, v115
	v_add_f32_e32 v38, v60, v38
	v_sub_f32_e32 v122, v18, v8
	s_delay_alu instid0(VALU_DEP_4) | instskip(SKIP_2) | instid1(VALU_DEP_4)
	v_fma_f32 v66, 0xbeb58ec6, v96, -v51
	v_mul_f32_e32 v64, 0x3f29c268, v116
	v_add_f32_e32 v104, v15, v13
	v_dual_sub_f32 v128, v13, v15 :: v_dual_mul_f32 v101, 0x3e750f2a, v122
	s_delay_alu instid0(VALU_DEP_4) | instskip(NEXT) | instid1(VALU_DEP_4)
	v_add_f32_e32 v25, v66, v25
	v_fma_f32 v75, 0xbf3f9e67, v96, -v64
	v_fmamk_f32 v60, v94, 0xbeb58ec6, v49
	v_fmamk_f32 v69, v94, 0xbf3f9e67, v63
	v_sub_f32_e32 v129, v12, v14
	v_dual_add_f32 v44, v44, v0 :: v_dual_mul_f32 v113, 0x3f7e222b, v46
	v_mul_f32_e32 v99, 0x3e750f2a, v121
	s_delay_alu instid0(VALU_DEP_4)
	v_add_f32_e32 v66, v69, v57
	v_dual_add_f32 v69, v75, v65 :: v_dual_add_f32 v24, v60, v24
	v_fmamk_f32 v60, v94, 0x3f62ad3f, v68
	v_mul_f32_e32 v57, 0xbf29c268, v121
	v_fmamk_f32 v65, v94, 0x3df6dbef, v91
	v_fma_f32 v75, 0x3df6dbef, v96, -v93
	v_fma_f32 v112, 0x3df6dbef, v84, -v113
	v_add_f32_e32 v38, v60, v38
	v_fma_f32 v60, 0x3f62ad3f, v96, -v81
	v_dual_fmamk_f32 v77, v98, 0xbf3f9e67, v57 :: v_dual_add_f32 v40, v65, v40
	v_add_f32_e32 v41, v75, v41
	v_mul_f32_e32 v65, 0x3f7e222b, v121
	s_delay_alu instid0(VALU_DEP_4) | instskip(NEXT) | instid1(VALU_DEP_4)
	v_dual_add_f32 v39, v60, v39 :: v_dual_mul_f32 v60, 0xbf29c268, v122
	v_add_f32_e32 v24, v77, v24
	v_mul_f32_e32 v82, 0xbf52af12, v121
	s_delay_alu instid0(VALU_DEP_4) | instskip(SKIP_3) | instid1(VALU_DEP_4)
	v_fmamk_f32 v83, v98, 0x3df6dbef, v65
	v_mul_f32_e32 v77, 0x3f7e222b, v122
	v_fma_f32 v75, 0xbf3f9e67, v100, -v60
	v_mul_f32_e32 v92, 0xbf52af12, v122
	v_dual_fmamk_f32 v97, v98, 0x3f116cb1, v82 :: v_dual_add_f32 v102, v83, v66
	s_delay_alu instid0(VALU_DEP_3) | instskip(NEXT) | instid1(VALU_DEP_3)
	v_dual_mul_f32 v66, 0xbe750f2a, v128 :: v_dual_add_f32 v25, v75, v25
	v_fma_f32 v75, 0x3f116cb1, v100, -v92
	s_delay_alu instid0(VALU_DEP_3) | instskip(SKIP_2) | instid1(VALU_DEP_4)
	v_add_f32_e32 v107, v97, v38
	v_mul_f32_e32 v97, 0xbf29c268, v129
	v_fma_f32 v95, 0x3df6dbef, v100, -v77
	v_dual_mul_f32 v105, 0x3f52af12, v129 :: v_dual_add_f32 v108, v75, v39
	v_fma_f32 v39, 0xbf788fa5, v100, -v101
	s_delay_alu instid0(VALU_DEP_3) | instskip(SKIP_1) | instid1(VALU_DEP_4)
	v_dual_add_f32 v103, v14, v12 :: v_dual_add_f32 v106, v95, v69
	v_mul_f32_e32 v75, 0x3eedf032, v128
	v_fma_f32 v131, 0x3f116cb1, v104, -v105
	s_delay_alu instid0(VALU_DEP_4) | instskip(SKIP_4) | instid1(VALU_DEP_4)
	v_add_f32_e32 v130, v39, v41
	v_fma_f32 v41, 0xbf3f9e67, v104, -v97
	v_mul_f32_e32 v114, 0xbf52af12, v89
	v_dual_fmamk_f32 v38, v98, 0xbf788fa5, v99 :: v_dual_fmamk_f32 v83, v103, 0xbf788fa5, v66
	v_mul_f32_e32 v69, 0xbe750f2a, v129
	v_add_f32_e32 v41, v41, v108
	s_delay_alu instid0(VALU_DEP_4) | instskip(NEXT) | instid1(VALU_DEP_4)
	v_fma_f32 v117, 0x3f116cb1, v90, -v114
	v_add_f32_e32 v110, v38, v40
	v_dual_mul_f32 v108, 0x3e750f2a, v115 :: v_dual_add_f32 v109, v112, v109
	v_mul_f32_e32 v112, 0x3e750f2a, v116
	v_fma_f32 v38, 0xbf788fa5, v104, -v69
	v_dual_add_f32 v24, v83, v24 :: v_dual_mul_f32 v83, 0x3eedf032, v129
	s_delay_alu instid0(VALU_DEP_4) | instskip(NEXT) | instid1(VALU_DEP_4)
	v_add_f32_e32 v117, v117, v109
	v_fma_f32 v120, 0xbf788fa5, v96, -v112
	v_mul_f32_e32 v95, 0xbf29c268, v128
	v_mul_f32_e32 v109, 0x3eedf032, v121
	;; [unrolled: 1-line block ×4, first 2 shown]
	v_add_f32_e32 v120, v120, v117
	v_dual_add_f32 v25, v38, v25 :: v_dual_fmamk_f32 v40, v103, 0xbf3f9e67, v95
	v_fmamk_f32 v39, v103, 0x3f62ad3f, v75
	v_fmamk_f32 v123, v98, 0x3f62ad3f, v109
	v_fmamk_f32 v133, v103, 0x3df6dbef, v116
	s_delay_alu instid0(VALU_DEP_4) | instskip(NEXT) | instid1(VALU_DEP_4)
	v_dual_mul_f32 v117, 0xbe750f2a, v42 :: v_dual_add_f32 v40, v40, v107
	v_add_f32_e32 v38, v39, v102
	v_fma_f32 v39, 0x3f62ad3f, v104, -v83
	v_mul_f32_e32 v102, 0x3f52af12, v128
	v_fmamk_f32 v119, v94, 0xbf788fa5, v108
	v_mul_f32_e32 v126, 0xbf6f5d39, v122
	s_delay_alu instid0(VALU_DEP_4) | instskip(NEXT) | instid1(VALU_DEP_4)
	v_dual_add_f32 v39, v39, v106 :: v_dual_mul_f32 v106, 0x3f7e222b, v45
	v_fmamk_f32 v118, v103, 0x3f116cb1, v102
	s_delay_alu instid0(VALU_DEP_2) | instskip(NEXT) | instid1(VALU_DEP_1)
	v_fmamk_f32 v111, v79, 0x3df6dbef, v106
	v_dual_add_f32 v44, v111, v44 :: v_dual_mul_f32 v107, 0xbf52af12, v47
	s_delay_alu instid0(VALU_DEP_1) | instskip(NEXT) | instid1(VALU_DEP_1)
	v_fmamk_f32 v111, v88, 0x3f116cb1, v107
	v_add_f32_e32 v44, v111, v44
	s_delay_alu instid0(VALU_DEP_1) | instskip(SKIP_3) | instid1(VALU_DEP_4)
	v_dual_add_f32 v119, v119, v44 :: v_dual_add_f32 v44, v118, v110
	v_fmamk_f32 v118, v73, 0xbf788fa5, v117
	v_mul_f32_e32 v111, 0x3eedf032, v122
	v_mul_f32_e32 v122, 0x3f7e222b, v129
	v_dual_add_f32 v42, v123, v119 :: v_dual_mul_f32 v119, 0x3eedf032, v45
	v_mul_f32_e32 v123, 0xbe750f2a, v43
	s_delay_alu instid0(VALU_DEP_4) | instskip(NEXT) | instid1(VALU_DEP_1)
	v_fma_f32 v124, 0x3f62ad3f, v100, -v111
	v_dual_add_f32 v43, v124, v120 :: v_dual_mul_f32 v124, 0x3eedf032, v46
	v_add_f32_e32 v46, v118, v0
	v_fmamk_f32 v118, v79, 0x3f62ad3f, v119
	v_mul_f32_e32 v120, 0xbf29c268, v47
	s_delay_alu instid0(VALU_DEP_4) | instskip(NEXT) | instid1(VALU_DEP_3)
	v_fma_f32 v47, 0x3f62ad3f, v84, -v124
	v_add_f32_e32 v46, v118, v46
	v_fma_f32 v45, 0xbf788fa5, v74, -v123
	s_delay_alu instid0(VALU_DEP_1) | instskip(NEXT) | instid1(VALU_DEP_1)
	v_dual_mul_f32 v110, 0xbf6f5d39, v128 :: v_dual_add_f32 v45, v45, v1
	v_fmamk_f32 v132, v103, 0xbeb58ec6, v110
	v_mul_f32_e32 v125, 0xbf29c268, v89
	v_fmamk_f32 v89, v88, 0xbf3f9e67, v120
	s_delay_alu instid0(VALU_DEP_4) | instskip(SKIP_1) | instid1(VALU_DEP_4)
	v_dual_mul_f32 v118, 0x3f52af12, v115 :: v_dual_add_f32 v45, v47, v45
	v_mul_f32_e32 v115, 0xbf6f5d39, v129
	v_fma_f32 v47, 0xbf3f9e67, v90, -v125
	s_delay_alu instid0(VALU_DEP_3) | instskip(NEXT) | instid1(VALU_DEP_3)
	v_dual_add_f32 v46, v89, v46 :: v_dual_fmamk_f32 v89, v94, 0x3f116cb1, v118
	v_fma_f32 v128, 0xbeb58ec6, v104, -v115
	s_delay_alu instid0(VALU_DEP_3) | instskip(SKIP_1) | instid1(VALU_DEP_4)
	v_add_f32_e32 v45, v47, v45
	v_fma_f32 v47, 0x3f116cb1, v96, -v127
	v_add_f32_e32 v46, v89, v46
	v_fma_f32 v89, 0xbeb58ec6, v100, -v126
	s_delay_alu instid0(VALU_DEP_3) | instskip(SKIP_1) | instid1(VALU_DEP_2)
	v_add_f32_e32 v45, v47, v45
	v_fmamk_f32 v47, v98, 0xbeb58ec6, v121
	v_add_f32_e32 v89, v89, v45
	s_delay_alu instid0(VALU_DEP_2) | instskip(SKIP_3) | instid1(VALU_DEP_4)
	v_add_f32_e32 v129, v47, v46
	v_add_f32_e32 v45, v131, v130
	v_fma_f32 v134, 0x3df6dbef, v104, -v122
	v_add_f32_e32 v46, v132, v42
	v_dual_add_f32 v47, v128, v43 :: v_dual_add_f32 v42, v133, v129
	s_delay_alu instid0(VALU_DEP_3)
	v_add_f32_e32 v43, v134, v89
	v_mul_lo_u16 v89, v86, 13
	s_and_saveexec_b32 s0, vcc_lo
	s_cbranch_execz .LBB0_7
; %bb.6:
	v_mul_f32_e32 v131, 0xbf788fa5, v74
	v_dual_mul_f32 v128, 0x3f62ad3f, v73 :: v_dual_mul_f32 v129, 0x3f62ad3f, v74
	v_mul_f32_e32 v130, 0x3f116cb1, v73
	v_dual_mul_f32 v133, 0x3df6dbef, v73 :: v_dual_mul_f32 v134, 0x3df6dbef, v74
	v_dual_mul_f32 v135, 0xbeb58ec6, v73 :: v_dual_mul_f32 v136, 0xbeb58ec6, v74
	v_dual_add_f32 v123, v123, v131 :: v_dual_mul_f32 v132, 0x3f116cb1, v74
	v_dual_mul_f32 v137, 0xbf3f9e67, v73 :: v_dual_mul_f32 v74, 0xbf3f9e67, v74
	v_mul_f32_e32 v131, 0x3f62ad3f, v84
	s_delay_alu instid0(VALU_DEP_3) | instskip(NEXT) | instid1(VALU_DEP_3)
	v_dual_add_f32 v123, v123, v1 :: v_dual_mul_f32 v138, 0x3f116cb1, v79
	v_dual_mul_f32 v139, 0x3f116cb1, v84 :: v_dual_add_f32 v74, v76, v74
	s_delay_alu instid0(VALU_DEP_3) | instskip(SKIP_2) | instid1(VALU_DEP_3)
	v_dual_add_f32 v124, v124, v131 :: v_dual_mul_f32 v131, 0xbf3f9e67, v90
	v_mul_f32_e32 v73, 0xbf788fa5, v73
	v_mul_f32_e32 v140, 0xbeb58ec6, v84
	v_dual_add_f32 v74, v74, v1 :: v_dual_add_f32 v123, v124, v123
	s_delay_alu instid0(VALU_DEP_4) | instskip(NEXT) | instid1(VALU_DEP_4)
	v_dual_add_f32 v124, v125, v131 :: v_dual_mul_f32 v125, 0x3f116cb1, v96
	v_sub_f32_e32 v73, v73, v117
	v_mul_f32_e32 v117, 0xbeb58ec6, v100
	v_dual_mul_f32 v141, 0xbf788fa5, v79 :: v_dual_mul_f32 v76, 0xbf788fa5, v90
	s_delay_alu instid0(VALU_DEP_4) | instskip(SKIP_1) | instid1(VALU_DEP_4)
	v_dual_add_f32 v123, v124, v123 :: v_dual_add_f32 v124, v127, v125
	v_mul_f32_e32 v125, 0xbf788fa5, v84
	v_dual_add_f32 v117, v126, v117 :: v_dual_mul_f32 v126, 0xbf3f9e67, v84
	s_delay_alu instid0(VALU_DEP_3) | instskip(SKIP_2) | instid1(VALU_DEP_3)
	v_dual_mul_f32 v84, 0x3df6dbef, v84 :: v_dual_add_f32 v123, v124, v123
	v_mul_f32_e32 v131, 0xbeb58ec6, v79
	v_dual_mul_f32 v124, 0xbf3f9e67, v79 :: v_dual_add_f32 v73, v73, v0
	v_dual_add_f32 v84, v113, v84 :: v_dual_mul_f32 v127, 0x3f62ad3f, v79
	s_delay_alu instid0(VALU_DEP_3) | instskip(SKIP_1) | instid1(VALU_DEP_3)
	v_dual_add_f32 v48, v48, v134 :: v_dual_sub_f32 v37, v131, v37
	v_add_f32_e32 v72, v72, v126
	v_dual_add_f32 v74, v84, v74 :: v_dual_sub_f32 v119, v127, v119
	v_mul_f32_e32 v127, 0xbf3f9e67, v88
	v_dual_mul_f32 v84, 0x3df6dbef, v104 :: v_dual_add_f32 v117, v117, v123
	s_delay_alu instid0(VALU_DEP_3) | instskip(NEXT) | instid1(VALU_DEP_3)
	v_dual_sub_f32 v70, v137, v70 :: v_dual_add_f32 v73, v119, v73
	v_sub_f32_e32 v119, v127, v120
	v_mul_f32_e32 v123, 0x3f116cb1, v94
	s_delay_alu instid0(VALU_DEP_4) | instskip(NEXT) | instid1(VALU_DEP_3)
	v_dual_mul_f32 v79, 0x3df6dbef, v79 :: v_dual_add_f32 v84, v122, v84
	v_dual_add_f32 v70, v70, v0 :: v_dual_add_f32 v73, v119, v73
	v_mul_f32_e32 v122, 0xbeb58ec6, v94
	s_delay_alu instid0(VALU_DEP_4) | instskip(SKIP_3) | instid1(VALU_DEP_4)
	v_dual_mul_f32 v119, 0xbf788fa5, v88 :: v_dual_sub_f32 v118, v123, v118
	v_mul_f32_e32 v123, 0xbeb58ec6, v98
	v_mul_f32_e32 v137, 0x3df6dbef, v103
	v_dual_sub_f32 v79, v79, v106 :: v_dual_mul_f32 v106, 0xbf3f9e67, v96
	v_dual_add_f32 v73, v118, v73 :: v_dual_mul_f32 v118, 0x3f116cb1, v90
	s_delay_alu instid0(VALU_DEP_3) | instskip(SKIP_2) | instid1(VALU_DEP_4)
	v_sub_f32_e32 v116, v137, v116
	v_mul_f32_e32 v120, 0x3df6dbef, v88
	v_dual_mul_f32 v126, 0xbeb58ec6, v103 :: v_dual_add_f32 v59, v59, v125
	v_add_f32_e32 v114, v114, v118
	v_mul_f32_e32 v118, 0x3f62ad3f, v88
	v_add_f32_e32 v70, v79, v70
	v_sub_f32_e32 v62, v124, v62
	v_sub_f32_e32 v32, v130, v32
	v_add_f32_e32 v74, v114, v74
	v_dual_mul_f32 v114, 0xbeb58ec6, v96 :: v_dual_sub_f32 v121, v123, v121
	v_add_f32_e32 v56, v56, v76
	s_delay_alu instid0(VALU_DEP_4) | instskip(SKIP_1) | instid1(VALU_DEP_4)
	v_add_f32_e32 v32, v32, v0
	v_add_f32_e32 v58, v58, v136
	v_dual_mul_f32 v136, 0x3f116cb1, v100 :: v_dual_add_f32 v73, v121, v73
	v_mul_f32_e32 v121, 0xbf788fa5, v96
	s_delay_alu instid0(VALU_DEP_3) | instskip(SKIP_1) | instid1(VALU_DEP_3)
	v_dual_mul_f32 v127, 0x3df6dbef, v90 :: v_dual_add_f32 v58, v58, v1
	v_sub_f32_e32 v53, v141, v53
	v_dual_sub_f32 v71, v118, v71 :: v_dual_add_f32 v112, v112, v121
	v_mul_f32_e32 v113, 0xbeb58ec6, v88
	v_mul_f32_e32 v88, 0x3f116cb1, v88
	;; [unrolled: 1-line block ×4, first 2 shown]
	v_add_f32_e32 v74, v112, v74
	v_mul_f32_e32 v112, 0x3f62ad3f, v96
	v_dual_sub_f32 v88, v88, v107 :: v_dual_mul_f32 v79, 0x3f62ad3f, v100
	v_mul_f32_e32 v107, 0x3df6dbef, v94
	v_sub_f32_e32 v110, v126, v110
	v_mul_f32_e32 v142, 0x3f62ad3f, v103
	s_delay_alu instid0(VALU_DEP_4)
	v_dual_add_f32 v70, v88, v70 :: v_dual_add_f32 v79, v111, v79
	v_mul_f32_e32 v88, 0xbeb58ec6, v104
	v_mul_f32_e32 v137, 0x3f62ad3f, v94
	;; [unrolled: 1-line block ×3, first 2 shown]
	v_add_f32_e32 v58, v72, v58
	v_add_f32_e32 v74, v79, v74
	v_dual_mul_f32 v79, 0x3f62ad3f, v98 :: v_dual_add_f32 v88, v115, v88
	s_delay_alu instid0(VALU_DEP_4) | instskip(SKIP_1) | instid1(VALU_DEP_2)
	v_dual_sub_f32 v94, v94, v108 :: v_dual_mul_f32 v115, 0x3df6dbef, v98
	v_dual_sub_f32 v72, v135, v54 :: v_dual_add_f32 v33, v33, v132
	v_dual_sub_f32 v79, v79, v109 :: v_dual_add_f32 v70, v94, v70
	v_mul_f32_e32 v94, 0x3df6dbef, v100
	v_dual_add_f32 v48, v48, v1 :: v_dual_mul_f32 v135, 0xbf3f9e67, v103
	v_mul_f32_e32 v90, 0x3f62ad3f, v90
	s_delay_alu instid0(VALU_DEP_4) | instskip(NEXT) | instid1(VALU_DEP_3)
	v_dual_add_f32 v70, v79, v70 :: v_dual_mul_f32 v79, 0xbf788fa5, v103
	v_dual_mul_f32 v103, 0x3f116cb1, v103 :: v_dual_add_f32 v48, v59, v48
	v_dual_add_f32 v59, v67, v123 :: v_dual_mul_f32 v126, 0xbf788fa5, v104
	v_dual_add_f32 v2, v2, v0 :: v_dual_mul_f32 v109, 0x3f116cb1, v98
	v_add_f32_e32 v78, v78, v90
	s_delay_alu instid0(VALU_DEP_3) | instskip(NEXT) | instid1(VALU_DEP_3)
	v_add_f32_e32 v48, v59, v48
	v_dual_add_f32 v59, v81, v112 :: v_dual_add_f32 v20, v20, v2
	v_mul_f32_e32 v124, 0xbf3f9e67, v104
	v_mul_f32_e32 v96, 0x3df6dbef, v96
	;; [unrolled: 1-line block ×4, first 2 shown]
	v_add_f32_e32 v20, v22, v20
	v_add_f32_e32 v22, v29, v129
	;; [unrolled: 1-line block ×4, first 2 shown]
	v_dual_mul_f32 v111, 0xbf3f9e67, v98 :: v_dual_mul_f32 v108, 0xbf3f9e67, v100
	v_mul_f32_e32 v98, 0xbf788fa5, v98
	v_mul_f32_e32 v100, 0xbf788fa5, v100
	s_delay_alu instid0(VALU_DEP_4)
	v_add_f32_e32 v48, v59, v48
	v_dual_add_f32 v59, v97, v124 :: v_dual_add_f32 v54, v84, v117
	v_dual_add_f32 v84, v72, v0 :: v_dual_sub_f32 v61, v113, v61
	v_add_f32_e32 v72, v88, v74
	v_add_f32_e32 v74, v93, v96
	v_dual_add_f32 v67, v105, v104 :: v_dual_add_f32 v58, v78, v58
	s_delay_alu instid0(VALU_DEP_4) | instskip(SKIP_1) | instid1(VALU_DEP_3)
	v_add_f32_e32 v62, v62, v84
	v_dual_add_f32 v32, v37, v32 :: v_dual_sub_f32 v37, v119, v55
	v_dual_add_f32 v3, v3, v1 :: v_dual_add_f32 v58, v74, v58
	v_add_f32_e32 v55, v77, v94
	s_delay_alu instid0(VALU_DEP_3) | instskip(SKIP_3) | instid1(VALU_DEP_3)
	v_add_f32_e32 v32, v37, v32
	v_dual_sub_f32 v37, v121, v63 :: v_dual_add_f32 v62, v71, v62
	v_dual_sub_f32 v71, v107, v91 :: v_dual_add_f32 v74, v101, v100
	v_add_f32_e32 v3, v21, v3
	v_add_f32_e32 v37, v37, v32
	v_sub_f32_e32 v21, v115, v65
	s_delay_alu instid0(VALU_DEP_4) | instskip(SKIP_4) | instid1(VALU_DEP_4)
	v_add_f32_e32 v62, v71, v62
	v_add_f32_e32 v58, v74, v58
	v_dual_add_f32 v71, v110, v70 :: v_dual_sub_f32 v70, v133, v36
	v_add_f32_e32 v3, v23, v3
	v_sub_f32_e32 v74, v98, v99
	v_add_f32_e32 v36, v67, v58
	v_sub_f32_e32 v67, v103, v102
	v_add_f32_e32 v21, v21, v37
	s_delay_alu instid0(VALU_DEP_4) | instskip(SKIP_3) | instid1(VALU_DEP_3)
	v_dual_add_f32 v3, v17, v3 :: v_dual_add_f32 v58, v74, v62
	v_sub_f32_e32 v17, v128, v28
	v_add_f32_e32 v62, v70, v0
	v_sub_f32_e32 v23, v142, v75
	v_dual_add_f32 v3, v19, v3 :: v_dual_add_f32 v0, v17, v0
	s_delay_alu instid0(VALU_DEP_3) | instskip(SKIP_1) | instid1(VALU_DEP_3)
	v_add_f32_e32 v53, v53, v62
	v_add_f32_e32 v62, v33, v1
	;; [unrolled: 1-line block ×4, first 2 shown]
	v_dual_add_f32 v35, v67, v58 :: v_dual_add_f32 v16, v16, v20
	v_dual_add_f32 v1, v22, v1 :: v_dual_add_f32 v20, v31, v139
	v_add_f32_e32 v50, v50, v140
	v_sub_f32_e32 v17, v138, v30
	s_delay_alu instid0(VALU_DEP_4) | instskip(SKIP_3) | instid1(VALU_DEP_4)
	v_add_f32_e32 v16, v18, v16
	v_add_f32_e32 v33, v59, v48
	;; [unrolled: 1-line block ×3, first 2 shown]
	v_dual_add_f32 v48, v61, v53 :: v_dual_add_f32 v3, v15, v3
	v_add_f32_e32 v12, v12, v16
	v_dual_sub_f32 v53, v137, v68 :: v_dual_add_f32 v50, v50, v62
	s_delay_alu instid0(VALU_DEP_4) | instskip(SKIP_1) | instid1(VALU_DEP_4)
	v_add_f32_e32 v1, v13, v1
	v_add_f32_e32 v0, v17, v0
	;; [unrolled: 1-line block ×3, first 2 shown]
	v_dual_sub_f32 v16, v120, v34 :: v_dual_add_f32 v3, v9, v3
	v_dual_add_f32 v48, v53, v48 :: v_dual_sub_f32 v9, v122, v49
	s_delay_alu instid0(VALU_DEP_3) | instskip(SKIP_1) | instid1(VALU_DEP_4)
	v_dual_add_f32 v8, v8, v12 :: v_dual_add_f32 v13, v51, v114
	v_add_f32_e32 v50, v56, v50
	v_dual_add_f32 v56, v64, v106 :: v_dual_add_f32 v3, v11, v3
	v_add_f32_e32 v0, v16, v0
	s_delay_alu instid0(VALU_DEP_4) | instskip(NEXT) | instid1(VALU_DEP_3)
	v_dual_add_f32 v8, v10, v8 :: v_dual_sub_f32 v53, v109, v82
	v_dual_add_f32 v1, v13, v1 :: v_dual_add_f32 v50, v56, v50
	s_delay_alu instid0(VALU_DEP_4) | instskip(NEXT) | instid1(VALU_DEP_4)
	v_dual_add_f32 v3, v5, v3 :: v_dual_add_f32 v12, v60, v108
	v_dual_add_f32 v0, v9, v0 :: v_dual_sub_f32 v9, v111, v57
	s_delay_alu instid0(VALU_DEP_4) | instskip(NEXT) | instid1(VALU_DEP_3)
	v_add_f32_e32 v4, v4, v8
	v_dual_add_f32 v48, v53, v48 :: v_dual_add_f32 v1, v12, v1
	v_add_f32_e32 v50, v55, v50
	v_add_f32_e32 v55, v83, v90
	;; [unrolled: 1-line block ×4, first 2 shown]
	v_dual_add_f32 v9, v6, v4 :: v_dual_sub_f32 v8, v79, v66
	v_dual_add_f32 v7, v7, v3 :: v_dual_and_b32 v10, 0xffff, v89
	v_sub_f32_e32 v53, v135, v95
	s_delay_alu instid0(VALU_DEP_3) | instskip(SKIP_1) | instid1(VALU_DEP_4)
	v_dual_add_f32 v2, v55, v50 :: v_dual_add_f32 v3, v8, v0
	v_add_f32_e32 v4, v5, v1
	v_dual_add_f32 v6, v27, v7 :: v_dual_add_f32 v5, v26, v9
	v_add_lshl_u32 v0, v52, v10, 3
	v_dual_add_f32 v32, v53, v48 :: v_dual_add_f32 v1, v23, v21
	v_add_f32_e32 v53, v116, v73
	ds_store_2addr_b64 v0, v[5:6], v[3:4] offset1:1
	ds_store_2addr_b64 v0, v[1:2], v[32:33] offset0:2 offset1:3
	ds_store_2addr_b64 v0, v[35:36], v[71:72] offset0:4 offset1:5
	;; [unrolled: 1-line block ×5, first 2 shown]
	ds_store_b64 v0, v[24:25] offset:96
.LBB0_7:
	s_wait_alu 0xfffe
	s_or_b32 exec_lo, exec_lo, s0
	v_add_lshl_u32 v88, v52, v86, 3
	global_wb scope:SCOPE_SE
	s_wait_dscnt 0x0
	s_barrier_signal -1
	s_barrier_wait -1
	global_inv scope:SCOPE_SE
	v_add_nc_u32_e32 v0, 0x800, v88
	v_add_nc_u32_e32 v1, 0x1000, v88
	v_cmp_gt_u16_e64 s0, 52, v86
                                        ; implicit-def: $vgpr50
	ds_load_2addr_b64 v[26:29], v88 offset1:143
	ds_load_2addr_b64 v[34:37], v0 offset0:30 offset1:173
	ds_load_2addr_b64 v[30:33], v1 offset0:60 offset1:203
	ds_load_b64 v[48:49], v88 offset:6864
	s_and_saveexec_b32 s1, s0
	s_cbranch_execz .LBB0_9
; %bb.8:
	ds_load_2addr_b64 v[0:3], v88 offset0:91 offset1:234
	v_add_nc_u32_e32 v4, 0xa00, v88
	s_wait_dscnt 0x0
	v_dual_mov_b32 v47, v3 :: v_dual_add_nc_u32 v8, 0x1400, v88
	ds_load_2addr_b64 v[4:7], v4 offset0:57 offset1:200
	ds_load_2addr_b64 v[22:25], v8 offset0:23 offset1:166
	ds_load_b64 v[50:51], v88 offset:7592
	v_mov_b32_e32 v46, v2
	v_dual_mov_b32 v42, v0 :: v_dual_mov_b32 v43, v1
	s_wait_dscnt 0x2
	v_dual_mov_b32 v45, v5 :: v_dual_mov_b32 v40, v6
	s_wait_dscnt 0x1
	v_dual_mov_b32 v41, v7 :: v_dual_mov_b32 v38, v22
	v_dual_mov_b32 v39, v23 :: v_dual_mov_b32 v44, v4
.LBB0_9:
	s_wait_alu 0xfffe
	s_or_b32 exec_lo, exec_lo, s1
	v_and_b32_e32 v0, 0xff, v86
	v_add_nc_u16 v1, v86, 0x5b
	s_delay_alu instid0(VALU_DEP_2) | instskip(NEXT) | instid1(VALU_DEP_2)
	v_mul_lo_u16 v0, 0x4f, v0
	v_and_b32_e32 v2, 0xff, v1
	s_delay_alu instid0(VALU_DEP_2) | instskip(NEXT) | instid1(VALU_DEP_1)
	v_lshrrev_b16 v53, 10, v0
	v_mul_lo_u16 v0, v53, 13
	s_delay_alu instid0(VALU_DEP_1) | instskip(NEXT) | instid1(VALU_DEP_1)
	v_sub_nc_u16 v0, v86, v0
	v_and_b32_e32 v54, 0xff, v0
	v_mul_lo_u16 v0, 0x4f, v2
	s_delay_alu instid0(VALU_DEP_2) | instskip(NEXT) | instid1(VALU_DEP_2)
	v_mul_u32_u24_e32 v2, 6, v54
	v_lshrrev_b16 v59, 10, v0
	s_delay_alu instid0(VALU_DEP_2) | instskip(NEXT) | instid1(VALU_DEP_2)
	v_lshlrev_b32_e32 v0, 3, v2
	v_mul_lo_u16 v2, v59, 13
	s_clause 0x1
	global_load_b128 v[20:23], v0, s[2:3]
	global_load_b128 v[16:19], v0, s[2:3] offset:16
	v_sub_nc_u16 v1, v1, v2
	v_and_b32_e32 v53, 0xffff, v53
	v_and_b32_e32 v93, 0xffff, v59
	s_wait_loadcnt_dscnt 0x102
	s_delay_alu instid0(VALU_DEP_3)
	v_dual_mul_f32 v56, v34, v23 :: v_dual_and_b32 v91, 0xff, v1
	s_wait_loadcnt_dscnt 0x1
	v_mul_f32_e32 v61, v30, v19
	global_load_b128 v[12:15], v0, s[2:3] offset:32
	v_mul_u32_u24_e32 v0, 6, v91
	v_mul_f32_e32 v60, v31, v19
	v_mul_u32_u24_e32 v53, 0x5b, v53
	v_mul_f32_e32 v57, v37, v17
	s_delay_alu instid0(VALU_DEP_4) | instskip(SKIP_1) | instid1(VALU_DEP_4)
	v_dual_mul_f32 v55, v35, v23 :: v_dual_lshlrev_b32 v8, 3, v0
	v_dual_mul_f32 v58, v36, v17 :: v_dual_fmac_f32 v61, v31, v18
	v_dual_mul_f32 v54, v28, v21 :: v_dual_add_nc_u32 v53, v53, v54
	v_fma_f32 v30, v30, v18, -v60
	s_delay_alu instid0(VALU_DEP_2) | instskip(SKIP_1) | instid1(VALU_DEP_1)
	v_add_lshl_u32 v92, v52, v53, 3
	v_mul_f32_e32 v53, v29, v21
	v_fma_f32 v28, v28, v20, -v53
	s_wait_loadcnt 0x0
	v_mul_f32_e32 v63, v32, v13
	s_clause 0x2
	global_load_b128 v[4:7], v8, s[2:3]
	global_load_b128 v[0:3], v8, s[2:3] offset:16
	global_load_b128 v[8:11], v8, s[2:3] offset:32
	s_wait_dscnt 0x0
	v_dual_mul_f32 v62, v33, v13 :: v_dual_mul_f32 v65, v48, v15
	v_mul_f32_e32 v64, v49, v15
	v_fmac_f32_e32 v54, v29, v20
	v_fma_f32 v29, v34, v22, -v55
	v_dual_fmac_f32 v56, v35, v22 :: v_dual_fmac_f32 v63, v33, v12
	v_fma_f32 v34, v36, v16, -v57
	v_fmac_f32_e32 v58, v37, v16
	v_fma_f32 v31, v32, v12, -v62
	v_fmac_f32_e32 v65, v49, v14
	s_load_b128 s[4:7], s[4:5], 0x0
	global_wb scope:SCOPE_SE
	s_wait_loadcnt 0x0
	s_wait_kmcnt 0x0
	s_barrier_signal -1
	s_barrier_wait -1
	global_inv scope:SCOPE_SE
	v_mul_f32_e32 v33, v47, v5
	v_fma_f32 v32, v48, v14, -v64
	v_mul_f32_e32 v60, v24, v9
	v_dual_mul_f32 v35, v46, v5 :: v_dual_mul_f32 v36, v45, v7
	v_mul_f32_e32 v49, v40, v1
	v_mul_f32_e32 v37, v44, v7
	s_delay_alu instid0(VALU_DEP_4)
	v_dual_mul_f32 v55, v38, v3 :: v_dual_fmac_f32 v60, v25, v8
	v_dual_mul_f32 v48, v41, v1 :: v_dual_mul_f32 v53, v39, v3
	v_dual_mul_f32 v57, v25, v9 :: v_dual_mul_f32 v62, v51, v11
	v_dual_mul_f32 v64, v50, v11 :: v_dual_fmac_f32 v35, v47, v4
	v_fma_f32 v36, v44, v6, -v36
	v_fmac_f32_e32 v37, v45, v6
	s_delay_alu instid0(VALU_DEP_3)
	v_dual_fmac_f32 v49, v41, v0 :: v_dual_fmac_f32 v64, v51, v10
	v_fmac_f32_e32 v55, v39, v2
	v_dual_add_f32 v39, v28, v32 :: v_dual_add_f32 v44, v29, v31
	v_add_f32_e32 v41, v54, v65
	v_add_f32_e32 v45, v56, v63
	v_fma_f32 v33, v46, v4, -v33
	v_add_f32_e32 v46, v34, v30
	v_fma_f32 v40, v40, v0, -v48
	v_fma_f32 v38, v38, v2, -v53
	v_fma_f32 v24, v24, v8, -v57
	v_fma_f32 v25, v50, v10, -v62
	v_sub_f32_e32 v28, v28, v32
	v_dual_sub_f32 v32, v54, v65 :: v_dual_sub_f32 v29, v29, v31
	v_sub_f32_e32 v30, v30, v34
	v_dual_add_f32 v47, v58, v61 :: v_dual_add_f32 v48, v44, v39
	v_dual_sub_f32 v34, v61, v58 :: v_dual_sub_f32 v31, v56, v63
	v_dual_add_f32 v50, v45, v41 :: v_dual_sub_f32 v51, v44, v39
	v_dual_sub_f32 v44, v46, v44 :: v_dual_sub_f32 v53, v45, v41
	s_delay_alu instid0(VALU_DEP_3)
	v_dual_add_f32 v56, v34, v31 :: v_dual_sub_f32 v39, v39, v46
	v_dual_add_f32 v54, v30, v29 :: v_dual_sub_f32 v41, v41, v47
	v_dual_sub_f32 v45, v47, v45 :: v_dual_sub_f32 v58, v34, v31
	v_dual_sub_f32 v57, v30, v29 :: v_dual_sub_f32 v34, v32, v34
	v_dual_sub_f32 v30, v28, v30 :: v_dual_sub_f32 v29, v29, v28
	v_dual_add_f32 v61, v33, v25 :: v_dual_add_f32 v62, v35, v64
	v_sub_f32_e32 v25, v33, v25
	v_sub_f32_e32 v33, v35, v64
	v_add_f32_e32 v35, v36, v24
	v_add_f32_e32 v63, v37, v60
	v_sub_f32_e32 v24, v36, v24
	v_dual_sub_f32 v36, v37, v60 :: v_dual_add_f32 v37, v40, v38
	v_dual_sub_f32 v38, v38, v40 :: v_dual_add_f32 v47, v47, v50
	v_sub_f32_e32 v40, v55, v49
	v_dual_add_f32 v46, v46, v48 :: v_dual_mul_f32 v41, 0x3f4a47b2, v41
	v_dual_sub_f32 v31, v31, v32 :: v_dual_add_f32 v60, v49, v55
	v_dual_add_f32 v28, v54, v28 :: v_dual_mul_f32 v55, 0xbf08b237, v58
	v_mul_f32_e32 v48, 0x3f4a47b2, v39
	v_dual_mul_f32 v50, 0x3d64c772, v45 :: v_dual_mul_f32 v49, 0x3d64c772, v44
	v_add_f32_e32 v58, v35, v61
	v_mul_f32_e32 v54, 0xbf08b237, v57
	v_dual_add_f32 v64, v63, v62 :: v_dual_add_f32 v67, v38, v24
	v_sub_f32_e32 v72, v24, v25
	v_dual_add_f32 v68, v40, v36 :: v_dual_sub_f32 v71, v25, v38
	v_sub_f32_e32 v69, v38, v24
	v_dual_sub_f32 v70, v40, v36 :: v_dual_add_f32 v39, v27, v47
	v_dual_add_f32 v38, v26, v46 :: v_dual_fmamk_f32 v45, v45, 0x3d64c772, v41
	v_dual_add_f32 v32, v56, v32 :: v_dual_mul_f32 v57, 0x3f5ff5aa, v31
	v_mul_f32_e32 v56, 0x3f5ff5aa, v29
	v_sub_f32_e32 v65, v35, v61
	v_dual_sub_f32 v66, v63, v62 :: v_dual_sub_f32 v63, v60, v63
	v_dual_sub_f32 v61, v61, v37 :: v_dual_sub_f32 v62, v62, v60
	v_dual_sub_f32 v35, v37, v35 :: v_dual_fmamk_f32 v44, v44, 0x3d64c772, v48
	v_add_f32_e32 v37, v37, v58
	v_fma_f32 v50, 0x3f3bfb3b, v53, -v50
	v_fma_f32 v41, 0xbf3bfb3b, v53, -v41
	;; [unrolled: 1-line block ×3, first 2 shown]
	v_dual_fmamk_f32 v46, v46, 0xbf955555, v38 :: v_dual_fmamk_f32 v47, v47, 0xbf955555, v39
	v_fmamk_f32 v73, v34, 0x3eae86e6, v55
	v_dual_add_f32 v55, v60, v64 :: v_dual_mul_f32 v26, 0x3f4a47b2, v61
	v_sub_f32_e32 v40, v33, v40
	v_sub_f32_e32 v36, v36, v33
	v_fma_f32 v49, 0x3f3bfb3b, v51, -v49
	v_fma_f32 v48, 0xbf3bfb3b, v51, -v48
	v_fmamk_f32 v51, v30, 0x3eae86e6, v54
	v_fma_f32 v54, 0x3f5ff5aa, v29, -v54
	v_fma_f32 v56, 0xbeae86e6, v30, -v56
	;; [unrolled: 1-line block ×3, first 2 shown]
	v_dual_add_f32 v57, v67, v25 :: v_dual_mul_f32 v30, 0x3d64c772, v63
	v_dual_add_f32 v33, v68, v33 :: v_dual_mul_f32 v58, 0xbf08b237, v70
	v_dual_mul_f32 v27, 0x3f4a47b2, v62 :: v_dual_add_f32 v24, v42, v37
	v_mul_f32_e32 v29, 0x3d64c772, v35
	v_mul_f32_e32 v31, 0xbf08b237, v69
	v_dual_mul_f32 v60, 0x3f5ff5aa, v72 :: v_dual_add_f32 v25, v43, v55
	v_dual_mul_f32 v61, 0x3f5ff5aa, v36 :: v_dual_add_f32 v50, v50, v47
	v_fmac_f32_e32 v51, 0x3ee1c552, v28
	v_dual_fmac_f32 v54, 0x3ee1c552, v28 :: v_dual_add_f32 v49, v49, v46
	v_fmac_f32_e32 v53, 0x3ee1c552, v32
	v_fmac_f32_e32 v56, 0x3ee1c552, v28
	;; [unrolled: 1-line block ×3, first 2 shown]
	v_fma_f32 v62, 0x3f3bfb3b, v65, -v29
	v_fma_f32 v64, 0xbf3bfb3b, v65, -v26
	;; [unrolled: 1-line block ×4, first 2 shown]
	v_dual_add_f32 v36, v44, v46 :: v_dual_fmac_f32 v73, 0x3ee1c552, v32
	v_fmamk_f32 v32, v35, 0x3d64c772, v26
	v_fmamk_f32 v35, v63, 0x3d64c772, v27
	v_fma_f32 v63, 0x3f3bfb3b, v66, -v30
	v_fma_f32 v30, 0xbeae86e6, v71, -v60
	v_add_f32_e32 v46, v48, v46
	v_dual_fmamk_f32 v27, v40, 0x3eae86e6, v58 :: v_dual_add_f32 v58, v45, v47
	v_fmamk_f32 v26, v71, 0x3eae86e6, v31
	v_fma_f32 v31, 0x3f5ff5aa, v72, -v31
	v_add_f32_e32 v47, v41, v47
	v_fmamk_f32 v48, v37, 0xbf955555, v24
	v_dual_fmamk_f32 v60, v55, 0xbf955555, v25 :: v_dual_add_f32 v45, v54, v50
	v_fma_f32 v28, 0xbeae86e6, v40, -v61
	v_fmac_f32_e32 v27, 0x3ee1c552, v33
	v_dual_fmac_f32 v31, 0x3ee1c552, v57 :: v_dual_sub_f32 v54, v50, v54
	v_dual_fmac_f32 v30, 0x3ee1c552, v57 :: v_dual_sub_f32 v43, v47, v56
	v_dual_sub_f32 v44, v49, v53 :: v_dual_add_f32 v37, v63, v60
	v_dual_add_f32 v32, v32, v48 :: v_dual_fmac_f32 v29, 0x3ee1c552, v33
	v_add_f32_e32 v56, v56, v47
	v_dual_fmac_f32 v28, 0x3ee1c552, v33 :: v_dual_sub_f32 v55, v46, v34
	v_dual_sub_f32 v41, v58, v51 :: v_dual_fmac_f32 v26, 0x3ee1c552, v57
	v_add_f32_e32 v40, v73, v36
	v_dual_add_f32 v42, v34, v46 :: v_dual_add_f32 v53, v53, v49
	v_dual_add_f32 v58, v51, v58 :: v_dual_sub_f32 v57, v36, v73
	v_add_f32_e32 v34, v62, v48
	v_add_f32_e32 v33, v64, v48
	v_sub_f32_e32 v49, v37, v31
	v_dual_add_f32 v35, v35, v60 :: v_dual_sub_f32 v46, v32, v27
	v_add_f32_e32 v36, v65, v60
	v_add_f32_e32 v48, v29, v34
	s_delay_alu instid0(VALU_DEP_3)
	v_dual_sub_f32 v50, v33, v28 :: v_dual_add_f32 v47, v26, v35
	ds_store_2addr_b64 v92, v[38:39], v[40:41] offset1:13
	ds_store_2addr_b64 v92, v[42:43], v[44:45] offset0:26 offset1:39
	ds_store_2addr_b64 v92, v[53:54], v[55:56] offset0:52 offset1:65
	ds_store_b64 v92, v[57:58] offset:624
	v_add_f32_e32 v51, v30, v36
	s_and_saveexec_b32 s1, s0
	s_cbranch_execz .LBB0_11
; %bb.10:
	v_mul_u32_u24_e32 v39, 0x5b, v93
	v_add_f32_e32 v38, v31, v37
	v_sub_f32_e32 v37, v34, v29
	v_dual_sub_f32 v29, v36, v30 :: v_dual_add_f32 v30, v27, v32
	s_delay_alu instid0(VALU_DEP_4) | instskip(SKIP_1) | instid1(VALU_DEP_2)
	v_dual_add_f32 v28, v28, v33 :: v_dual_add_nc_u32 v39, v39, v91
	v_sub_f32_e32 v31, v35, v26
	v_add_lshl_u32 v26, v52, v39, 3
	ds_store_2addr_b64 v26, v[24:25], v[30:31] offset1:13
	ds_store_2addr_b64 v26, v[28:29], v[37:38] offset0:26 offset1:39
	ds_store_2addr_b64 v26, v[48:49], v[50:51] offset0:52 offset1:65
	ds_store_b64 v26, v[46:47] offset:624
.LBB0_11:
	s_wait_alu 0xfffe
	s_or_b32 exec_lo, exec_lo, s1
	v_mad_co_u64_u32 v[32:33], null, 0x50, v86, s[2:3]
	global_wb scope:SCOPE_SE
	s_wait_dscnt 0x0
	s_barrier_signal -1
	s_barrier_wait -1
	global_inv scope:SCOPE_SE
	v_lshl_add_u32 v90, v86, 3, v87
	s_clause 0x4
	global_load_b128 v[40:43], v[32:33], off offset:624
	global_load_b128 v[36:39], v[32:33], off offset:640
	;; [unrolled: 1-line block ×5, first 2 shown]
	ds_load_2addr_b64 v[60:63], v88 offset0:91 offset1:182
	v_add_nc_u32_e32 v44, 0x800, v88
	s_wait_loadcnt_dscnt 0x400
	v_dual_mul_f32 v76, v61, v41 :: v_dual_add_nc_u32 v45, 0xc00, v88
	v_mul_f32_e32 v77, v60, v41
	ds_load_2addr_b64 v[56:59], v44 offset0:17 offset1:108
	v_dual_mul_f32 v79, v62, v43 :: v_dual_add_nc_u32 v44, 0x1000, v88
	ds_load_2addr_b64 v[52:55], v45 offset0:71 offset1:162
	v_dual_mul_f32 v78, v63, v43 :: v_dual_add_nc_u32 v45, 0x1800, v88
	ds_load_2addr_b64 v[64:67], v44 offset0:125 offset1:216
	ds_load_b64 v[73:74], v88
	ds_load_2addr_b64 v[68:71], v45 offset0:51 offset1:142
	v_add_nc_u32_e32 v75, 0xc00, v90
	v_add_nc_u32_e32 v45, 0x1000, v90
	;; [unrolled: 1-line block ×4, first 2 shown]
	v_fma_f32 v60, v60, v40, -v76
	s_wait_loadcnt_dscnt 0x304
	v_dual_mul_f32 v83, v59, v39 :: v_dual_mul_f32 v82, v56, v37
	v_dual_mul_f32 v84, v58, v39 :: v_dual_mul_f32 v81, v57, v37
	s_wait_loadcnt_dscnt 0x203
	v_dual_mul_f32 v94, v53, v29 :: v_dual_mul_f32 v97, v54, v31
	s_wait_loadcnt_dscnt 0x102
	;; [unrolled: 2-line block ×3, first 2 shown]
	v_dual_mul_f32 v102, v69, v33 :: v_dual_mul_f32 v105, v70, v35
	v_dual_mul_f32 v103, v68, v33 :: v_dual_mul_f32 v104, v71, v35
	;; [unrolled: 1-line block ×4, first 2 shown]
	v_dual_fmac_f32 v77, v61, v40 :: v_dual_fmac_f32 v84, v59, v38
	v_fma_f32 v61, v62, v42, -v78
	v_dual_fmac_f32 v79, v63, v42 :: v_dual_fmac_f32 v82, v57, v36
	v_fma_f32 v70, v70, v34, -v104
	v_fmac_f32_e32 v105, v71, v34
	v_fmac_f32_e32 v101, v67, v26
	v_fma_f32 v67, v68, v32, -v102
	v_fma_f32 v56, v56, v36, -v81
	;; [unrolled: 1-line block ×4, first 2 shown]
	v_dual_fmac_f32 v95, v53, v28 :: v_dual_add_f32 v62, v60, v70
	v_fma_f32 v53, v54, v30, -v96
	v_dual_fmac_f32 v97, v55, v30 :: v_dual_add_f32 v58, v73, v60
	v_fma_f32 v54, v64, v24, -v98
	v_dual_fmac_f32 v99, v65, v24 :: v_dual_sub_f32 v60, v60, v70
	v_fma_f32 v55, v66, v26, -v100
	v_sub_f32_e32 v68, v61, v67
	v_sub_f32_e32 v64, v77, v105
	v_dual_fmac_f32 v103, v69, v32 :: v_dual_add_f32 v76, v82, v101
	v_add_f32_e32 v59, v74, v77
	v_dual_add_f32 v65, v61, v67 :: v_dual_sub_f32 v78, v82, v101
	v_dual_add_f32 v63, v77, v105 :: v_dual_sub_f32 v96, v84, v99
	s_delay_alu instid0(VALU_DEP_4)
	v_add_f32_e32 v66, v79, v103
	v_dual_sub_f32 v69, v79, v103 :: v_dual_sub_f32 v94, v57, v54
	v_dual_add_f32 v71, v56, v55 :: v_dual_add_f32 v100, v95, v97
	v_dual_sub_f32 v77, v56, v55 :: v_dual_sub_f32 v104, v95, v97
	v_dual_add_f32 v83, v84, v99 :: v_dual_add_f32 v58, v58, v61
	v_dual_sub_f32 v102, v52, v53 :: v_dual_add_f32 v59, v59, v79
	v_dual_mul_f32 v61, 0xbf0a6770, v64 :: v_dual_mul_f32 v126, 0xbf0a6770, v78
	v_mul_f32_e32 v79, 0xbf0a6770, v60
	v_dual_add_f32 v81, v57, v54 :: v_dual_add_f32 v98, v52, v53
	v_dual_mul_f32 v107, 0xbf68dda4, v60 :: v_dual_mul_f32 v112, 0xbf68dda4, v69
	v_dual_mul_f32 v108, 0xbf7d64f0, v64 :: v_dual_mul_f32 v121, 0xbf7d64f0, v77
	;; [unrolled: 1-line block ×3, first 2 shown]
	v_mul_f32_e32 v110, 0xbf4178ce, v64
	v_dual_mul_f32 v111, 0xbf4178ce, v60 :: v_dual_mul_f32 v114, 0xbf4178ce, v69
	v_dual_mul_f32 v60, 0xbe903f40, v60 :: v_dual_mul_f32 v137, 0xbe903f40, v102
	v_mul_f32_e32 v115, 0xbf4178ce, v68
	v_dual_mul_f32 v116, 0x3e903f40, v69 :: v_dual_mul_f32 v117, 0x3e903f40, v68
	v_dual_mul_f32 v118, 0x3f7d64f0, v69 :: v_dual_mul_f32 v119, 0x3f7d64f0, v68
	v_mul_f32_e32 v69, 0x3f0a6770, v69
	v_dual_mul_f32 v133, 0xbf0a6770, v94 :: v_dual_add_f32 v56, v58, v56
	v_add_f32_e32 v58, v59, v82
	v_fma_f32 v59, 0x3f575c64, v62, -v61
	v_mul_f32_e32 v106, 0xbf68dda4, v64
	v_dual_mul_f32 v64, 0xbe903f40, v64 :: v_dual_mul_f32 v135, 0xbe903f40, v94
	v_fmamk_f32 v82, v63, 0x3f575c64, v79
	v_mul_f32_e32 v113, 0xbf68dda4, v68
	v_mul_f32_e32 v68, 0x3f0a6770, v68
	v_fmac_f32_e32 v61, 0x3f575c64, v62
	v_fma_f32 v164, 0x3f575c64, v71, -v126
	v_fmac_f32_e32 v126, 0x3f575c64, v71
	v_mul_f32_e32 v134, 0xbe903f40, v96
	v_dual_mul_f32 v122, 0x3e903f40, v78 :: v_dual_mul_f32 v123, 0x3e903f40, v77
	v_dual_mul_f32 v124, 0x3f68dda4, v78 :: v_dual_mul_f32 v125, 0x3f68dda4, v77
	;; [unrolled: 1-line block ×9, first 2 shown]
	v_fma_f32 v79, 0x3f575c64, v63, -v79
	v_mul_f32_e32 v94, 0x3f68dda4, v94
	v_fma_f32 v146, 0xbe11bafb, v62, -v108
	v_mul_f32_e32 v142, 0x3f68dda4, v104
	v_dual_fmamk_f32 v147, v63, 0xbe11bafb, v109 :: v_dual_fmac_f32 v108, 0xbe11bafb, v62
	v_fma_f32 v109, 0xbe11bafb, v63, -v109
	v_fma_f32 v148, 0xbf27a4f4, v62, -v110
	v_mul_f32_e32 v102, 0xbf7d64f0, v102
	v_dual_fmamk_f32 v149, v63, 0xbf27a4f4, v111 :: v_dual_fmac_f32 v110, 0xbf27a4f4, v62
	v_fma_f32 v111, 0xbf27a4f4, v63, -v111
	v_fma_f32 v150, 0xbf75a155, v62, -v64
	v_fmamk_f32 v151, v63, 0xbf75a155, v60
	v_dual_fmac_f32 v64, 0xbf75a155, v62 :: v_dual_fmamk_f32 v155, v66, 0xbf75a155, v117
	v_fma_f32 v60, 0xbf75a155, v63, -v60
	v_fma_f32 v152, 0xbf27a4f4, v65, -v114
	v_dual_fmamk_f32 v153, v66, 0xbf27a4f4, v115 :: v_dual_fmac_f32 v114, 0xbf27a4f4, v65
	v_fma_f32 v154, 0xbf75a155, v65, -v116
	v_dual_fmac_f32 v116, 0xbf75a155, v65 :: v_dual_fmamk_f32 v161, v76, 0xbf75a155, v123
	v_fma_f32 v156, 0xbe11bafb, v65, -v118
	v_dual_fmamk_f32 v157, v66, 0xbe11bafb, v119 :: v_dual_fmac_f32 v118, 0xbe11bafb, v65
	v_fma_f32 v158, 0x3f575c64, v65, -v69
	v_fmamk_f32 v159, v66, 0x3f575c64, v68
	v_fmac_f32_e32 v69, 0x3f575c64, v65
	v_add_f32_e32 v59, v73, v59
	v_fma_f32 v144, 0x3ed4b147, v62, -v106
	v_dual_fmamk_f32 v145, v63, 0x3ed4b147, v107 :: v_dual_fmac_f32 v106, 0x3ed4b147, v62
	v_fma_f32 v107, 0x3ed4b147, v63, -v107
	v_mul_f32_e32 v136, 0xbe903f40, v104
	v_dual_mul_f32 v104, 0xbf7d64f0, v104 :: v_dual_add_f32 v109, v74, v109
	v_fma_f32 v62, 0x3ed4b147, v65, -v112
	v_fmac_f32_e32 v112, 0x3ed4b147, v65
	v_fma_f32 v65, 0x3f575c64, v66, -v68
	v_dual_fmamk_f32 v68, v76, 0xbe11bafb, v121 :: v_dual_add_f32 v111, v74, v111
	v_fma_f32 v121, 0xbe11bafb, v76, -v121
	v_add_f32_e32 v82, v74, v82
	v_fmamk_f32 v63, v66, 0x3ed4b147, v113
	v_add_f32_e32 v61, v73, v61
	v_fma_f32 v172, 0xbf75a155, v81, -v134
	v_fmac_f32_e32 v134, 0xbf75a155, v81
	v_dual_add_f32 v56, v56, v57 :: v_dual_add_f32 v57, v58, v84
	v_fma_f32 v113, 0x3ed4b147, v66, -v113
	v_fma_f32 v115, 0xbf27a4f4, v66, -v115
	;; [unrolled: 1-line block ×5, first 2 shown]
	v_dual_fmac_f32 v120, 0xbe11bafb, v71 :: v_dual_fmamk_f32 v169, v83, 0xbe11bafb, v131
	v_fma_f32 v160, 0xbf75a155, v71, -v122
	v_dual_fmac_f32 v122, 0xbf75a155, v71 :: v_dual_fmamk_f32 v173, v83, 0xbf75a155, v135
	v_fma_f32 v123, 0xbf75a155, v76, -v123
	v_fma_f32 v162, 0x3ed4b147, v71, -v124
	v_dual_fmamk_f32 v163, v76, 0x3ed4b147, v125 :: v_dual_fmac_f32 v124, 0x3ed4b147, v71
	v_fma_f32 v125, 0x3ed4b147, v76, -v125
	v_fmamk_f32 v165, v76, 0x3f575c64, v127
	v_fma_f32 v127, 0x3f575c64, v76, -v127
	v_fma_f32 v166, 0xbf27a4f4, v71, -v78
	v_dual_fmamk_f32 v167, v76, 0xbf27a4f4, v77 :: v_dual_fmac_f32 v78, 0xbf27a4f4, v71
	v_fma_f32 v71, 0xbf27a4f4, v76, -v77
	v_fma_f32 v76, 0xbf27a4f4, v81, -v128
	v_dual_fmamk_f32 v77, v83, 0xbf27a4f4, v129 :: v_dual_fmac_f32 v128, 0xbf27a4f4, v81
	v_fma_f32 v129, 0xbf27a4f4, v83, -v129
	v_fma_f32 v168, 0xbe11bafb, v81, -v130
	v_fmac_f32_e32 v130, 0xbe11bafb, v81
	v_fma_f32 v131, 0xbe11bafb, v83, -v131
	v_fma_f32 v170, 0x3f575c64, v81, -v132
	v_dual_fmamk_f32 v171, v83, 0x3f575c64, v133 :: v_dual_fmac_f32 v132, 0x3f575c64, v81
	v_fma_f32 v133, 0x3f575c64, v83, -v133
	v_fma_f32 v135, 0xbf75a155, v83, -v135
	v_fma_f32 v174, 0x3ed4b147, v81, -v96
	v_dual_fmac_f32 v96, 0x3ed4b147, v81 :: v_dual_fmamk_f32 v181, v100, 0x3ed4b147, v143
	v_fma_f32 v176, 0x3f575c64, v98, -v138
	v_dual_fmamk_f32 v177, v100, 0x3f575c64, v139 :: v_dual_add_f32 v106, v73, v106
	v_fmac_f32_e32 v138, 0x3f575c64, v98
	v_fma_f32 v139, 0x3f575c64, v100, -v139
	v_fma_f32 v178, 0xbf27a4f4, v98, -v140
	v_dual_fmac_f32 v140, 0xbf27a4f4, v98 :: v_dual_add_f32 v61, v112, v61
	v_fma_f32 v179, 0x3ed4b147, v98, -v142
	v_fmac_f32_e32 v142, 0x3ed4b147, v98
	v_fma_f32 v180, 0xbe11bafb, v98, -v104
	v_fma_f32 v143, 0x3ed4b147, v100, -v143
	v_dual_fmamk_f32 v182, v100, 0xbe11bafb, v102 :: v_dual_add_f32 v79, v74, v79
	v_fmamk_f32 v175, v83, 0x3ed4b147, v94
	v_fma_f32 v81, 0x3ed4b147, v83, -v94
	v_fmamk_f32 v94, v100, 0xbf75a155, v137
	v_fma_f32 v137, 0xbf75a155, v100, -v137
	v_add_f32_e32 v107, v74, v107
	v_fma_f32 v83, 0xbf75a155, v98, -v136
	v_fmac_f32_e32 v136, 0xbf75a155, v98
	v_fmac_f32_e32 v104, 0xbe11bafb, v98
	v_fmamk_f32 v98, v100, 0xbf27a4f4, v141
	v_fma_f32 v141, 0xbf27a4f4, v100, -v141
	v_fma_f32 v100, 0xbe11bafb, v100, -v102
	v_add_f32_e32 v102, v73, v144
	v_dual_add_f32 v144, v74, v145 :: v_dual_add_f32 v145, v73, v146
	v_add_f32_e32 v146, v74, v147
	v_add_f32_e32 v108, v73, v108
	;; [unrolled: 1-line block ×9, first 2 shown]
	v_dual_add_f32 v64, v73, v64 :: v_dual_add_f32 v63, v152, v102
	v_dual_add_f32 v102, v117, v109 :: v_dual_add_f32 v109, v119, v111
	;; [unrolled: 1-line block ×3, first 2 shown]
	v_add_f32_e32 v149, v73, v150
	v_add_f32_e32 v73, v153, v144
	;; [unrolled: 1-line block ×6, first 2 shown]
	v_dual_add_f32 v79, v115, v107 :: v_dual_add_f32 v52, v52, v53
	v_add_f32_e32 v53, v56, v97
	v_add_f32_e32 v82, v154, v145
	v_dual_add_f32 v56, v66, v57 :: v_dual_add_f32 v57, v68, v59
	v_dual_add_f32 v59, v120, v61 :: v_dual_add_f32 v84, v155, v146
	v_add_f32_e32 v66, v123, v79
	v_dual_add_f32 v64, v69, v64 :: v_dual_add_f32 v79, v164, v106
	v_dual_add_f32 v61, v121, v62 :: v_dual_add_f32 v62, v160, v63
	v_add_f32_e32 v63, v161, v73
	v_dual_add_f32 v73, v124, v95 :: v_dual_add_f32 v60, v65, v60
	v_add_f32_e32 v65, v122, v74
	v_add_f32_e32 v58, v159, v58
	v_dual_add_f32 v95, v127, v109 :: v_dual_add_f32 v52, v52, v54
	v_dual_add_f32 v53, v53, v99 :: v_dual_add_f32 v68, v162, v82
	v_add_f32_e32 v54, v76, v56
	v_dual_add_f32 v56, v77, v57 :: v_dual_add_f32 v57, v128, v59
	v_add_f32_e32 v69, v163, v84
	;; [unrolled: 2-line block ×4, first 2 shown]
	v_dual_add_f32 v62, v169, v63 :: v_dual_add_f32 v63, v130, v65
	s_delay_alu instid0(VALU_DEP_4)
	v_dual_add_f32 v58, v167, v58 :: v_dual_add_f32 v59, v137, v59
	v_dual_add_f32 v65, v131, v66 :: v_dual_add_f32 v66, v170, v68
	v_add_f32_e32 v68, v171, v69
	v_dual_add_f32 v69, v132, v73 :: v_dual_add_f32 v60, v71, v60
	v_add_f32_e32 v82, v165, v107
	;; [unrolled: 2-line block ×3, first 2 shown]
	s_delay_alu instid0(VALU_DEP_4)
	v_add_f32_e32 v95, v81, v60
	v_add_f32_e32 v81, v53, v101
	;; [unrolled: 1-line block ×4, first 2 shown]
	v_dual_add_f32 v65, v98, v68 :: v_dual_add_f32 v60, v52, v55
	v_add_f32_e32 v97, v166, v110
	v_dual_add_f32 v64, v78, v64 :: v_dual_add_f32 v55, v177, v62
	v_dual_add_f32 v62, v140, v69 :: v_dual_add_f32 v69, v81, v103
	v_add_f32_e32 v52, v83, v54
	v_add_f32_e32 v54, v176, v61
	v_dual_add_f32 v61, v60, v67 :: v_dual_add_f32 v74, v125, v102
	v_add_f32_e32 v53, v94, v56
	v_add_f32_e32 v76, v134, v84
	;; [unrolled: 1-line block ×3, first 2 shown]
	s_delay_alu instid0(VALU_DEP_4) | instskip(SKIP_2) | instid1(VALU_DEP_4)
	v_dual_add_f32 v84, v96, v64 :: v_dual_add_f32 v71, v133, v74
	v_add_f32_e32 v74, v173, v82
	v_add_f32_e32 v56, v138, v63
	;; [unrolled: 1-line block ×5, first 2 shown]
	v_dual_add_f32 v82, v69, v105 :: v_dual_add_f32 v69, v182, v79
	v_add_f32_e32 v67, v181, v74
	v_add_f32_e32 v64, v178, v66
	;; [unrolled: 1-line block ×4, first 2 shown]
	v_dual_add_f32 v71, v100, v95 :: v_dual_add_f32 v60, v142, v76
	v_add_f32_e32 v61, v143, v77
	ds_store_b64 v90, v[81:82]
	ds_store_2addr_b64 v90, v[52:53], v[54:55] offset0:91 offset1:182
	ds_store_2addr_b64 v44, v[64:65], v[66:67] offset0:17 offset1:108
	ds_store_2addr_b64 v75, v[68:69], v[70:71] offset0:71 offset1:162
	ds_store_2addr_b64 v45, v[60:61], v[62:63] offset0:125 offset1:216
	ds_store_2addr_b64 v72, v[56:57], v[58:59] offset0:51 offset1:142
	global_wb scope:SCOPE_SE
	s_wait_dscnt 0x0
	s_barrier_signal -1
	s_barrier_wait -1
	global_inv scope:SCOPE_SE
	s_and_saveexec_b32 s1, vcc_lo
	s_cbranch_execz .LBB0_13
; %bb.12:
	global_load_b64 v[73:74], v85, s[8:9] offset:8008
	s_add_nc_u64 s[2:3], s[8:9], 0x1f48
	s_clause 0xb
	global_load_b64 v[77:78], v85, s[2:3] offset:616
	global_load_b64 v[83:84], v85, s[2:3] offset:1232
	;; [unrolled: 1-line block ×12, first 2 shown]
	ds_load_b64 v[75:76], v90
	v_add_nc_u32_e32 v135, 0x400, v90
	v_add_nc_u32_e32 v136, 0x1400, v90
	s_wait_loadcnt_dscnt 0xc00
	v_mul_f32_e32 v79, v76, v74
	v_mul_f32_e32 v95, v75, v74
	s_delay_alu instid0(VALU_DEP_2) | instskip(NEXT) | instid1(VALU_DEP_2)
	v_fma_f32 v94, v75, v73, -v79
	v_fmac_f32_e32 v95, v76, v73
	ds_store_b64 v90, v[94:95]
	ds_load_2addr_b64 v[73:76], v90 offset0:77 offset1:154
	ds_load_2addr_b64 v[94:97], v135 offset0:103 offset1:180
	;; [unrolled: 1-line block ×6, first 2 shown]
	s_wait_loadcnt_dscnt 0x804
	v_dual_mul_f32 v137, v74, v78 :: v_dual_mul_f32 v140, v97, v117
	v_mul_f32_e32 v138, v76, v84
	v_dual_mul_f32 v134, v75, v84 :: v_dual_mul_f32 v79, v73, v78
	s_wait_loadcnt_dscnt 0x603
	v_dual_mul_f32 v139, v95, v115 :: v_dual_mul_f32 v142, v101, v121
	v_dual_mul_f32 v84, v94, v115 :: v_dual_mul_f32 v115, v96, v117
	s_wait_loadcnt_dscnt 0x402
	v_dual_mul_f32 v141, v99, v119 :: v_dual_mul_f32 v144, v105, v125
	s_wait_loadcnt_dscnt 0x201
	v_dual_mul_f32 v117, v98, v119 :: v_dual_mul_f32 v146, v109, v129
	v_mul_f32_e32 v119, v100, v121
	s_wait_loadcnt_dscnt 0x0
	v_dual_mul_f32 v143, v103, v123 :: v_dual_mul_f32 v148, v113, v133
	v_mul_f32_e32 v121, v102, v123
	v_mul_f32_e32 v123, v104, v125
	;; [unrolled: 1-line block ×8, first 2 shown]
	v_fma_f32 v78, v73, v77, -v137
	v_fma_f32 v133, v75, v83, -v138
	v_dual_fmac_f32 v134, v76, v83 :: v_dual_fmac_f32 v79, v74, v77
	v_fma_f32 v83, v94, v114, -v139
	v_fmac_f32_e32 v84, v95, v114
	v_fma_f32 v114, v96, v116, -v140
	v_fmac_f32_e32 v115, v97, v116
	;; [unrolled: 2-line block ×10, first 2 shown]
	ds_store_2addr_b64 v90, v[78:79], v[133:134] offset0:77 offset1:154
	ds_store_2addr_b64 v135, v[83:84], v[114:115] offset0:103 offset1:180
	;; [unrolled: 1-line block ×6, first 2 shown]
.LBB0_13:
	s_wait_alu 0xfffe
	s_or_b32 exec_lo, exec_lo, s1
	global_wb scope:SCOPE_SE
	s_wait_dscnt 0x0
	s_barrier_signal -1
	s_barrier_wait -1
	global_inv scope:SCOPE_SE
	s_and_saveexec_b32 s1, vcc_lo
	s_cbranch_execz .LBB0_15
; %bb.14:
	v_add_nc_u32_e32 v44, 0x400, v90
	v_add_nc_u32_e32 v45, 0x800, v90
	;; [unrolled: 1-line block ×5, first 2 shown]
	ds_load_b64 v[81:82], v90
	ds_load_2addr_b64 v[52:55], v90 offset0:77 offset1:154
	ds_load_2addr_b64 v[64:67], v44 offset0:103 offset1:180
	;; [unrolled: 1-line block ×6, first 2 shown]
.LBB0_15:
	s_wait_alu 0xfffe
	s_or_b32 exec_lo, exec_lo, s1
	s_wait_dscnt 0x0
	v_dual_sub_f32 v44, v53, v51 :: v_dual_add_f32 v45, v51, v53
	v_dual_add_f32 v134, v50, v52 :: v_dual_sub_f32 v135, v52, v50
	v_sub_f32_e32 v165, v66, v56
	s_delay_alu instid0(VALU_DEP_3) | instskip(NEXT) | instid1(VALU_DEP_4)
	v_mul_f32_e32 v122, 0xbe750f2a, v44
	v_mul_f32_e32 v95, 0x3f62ad3f, v45
	;; [unrolled: 1-line block ×6, first 2 shown]
	v_fmamk_f32 v73, v135, 0xbeedf032, v95
	v_mul_f32_e32 v102, 0xbf7e222b, v44
	v_fmamk_f32 v75, v135, 0xbf52af12, v99
	v_mul_f32_e32 v104, 0x3df6dbef, v45
	v_dual_mul_f32 v119, 0xbf3f9e67, v45 :: v_dual_add_f32 v100, v49, v55
	v_add_f32_e32 v73, v82, v73
	v_fma_f32 v76, 0x3df6dbef, v134, -v102
	v_add_f32_e32 v75, v82, v75
	v_fmamk_f32 v77, v135, 0xbf7e222b, v104
	v_mul_f32_e32 v131, 0xbf788fa5, v45
	s_delay_alu instid0(VALU_DEP_4) | instskip(NEXT) | instid1(VALU_DEP_3)
	v_dual_sub_f32 v45, v55, v49 :: v_dual_add_f32 v76, v81, v76
	v_dual_mul_f32 v114, 0xbf29c268, v44 :: v_dual_add_f32 v77, v82, v77
	v_mul_f32_e32 v107, 0xbf6f5d39, v44
	v_fma_f32 v84, 0xbf788fa5, v134, -v122
	s_delay_alu instid0(VALU_DEP_4) | instskip(NEXT) | instid1(VALU_DEP_4)
	v_dual_add_f32 v147, v48, v54 :: v_dual_mul_f32 v96, 0xbf52af12, v45
	v_fma_f32 v83, 0xbf3f9e67, v134, -v114
	v_fmamk_f32 v79, v135, 0xbf6f5d39, v110
	v_fma_f32 v72, 0x3f62ad3f, v134, -v94
	v_fma_f32 v74, 0x3f116cb1, v134, -v98
	v_add_f32_e32 v84, v81, v84
	v_dual_add_f32 v44, v81, v83 :: v_dual_mul_f32 v109, 0xbe750f2a, v45
	v_dual_fmamk_f32 v97, v135, 0xbe750f2a, v131 :: v_dual_sub_f32 v148, v54, v48
	v_add_f32_e32 v72, v81, v72
	v_add_f32_e32 v74, v81, v74
	s_delay_alu instid0(VALU_DEP_4) | instskip(SKIP_3) | instid1(VALU_DEP_4)
	v_fma_f32 v112, 0xbf788fa5, v147, -v109
	v_mul_f32_e32 v103, 0xbf6f5d39, v45
	v_dual_fmamk_f32 v83, v135, 0xbf29c268, v119 :: v_dual_add_f32 v106, v82, v97
	v_fma_f32 v101, 0x3f116cb1, v147, -v96
	v_add_f32_e32 v76, v112, v76
	s_delay_alu instid0(VALU_DEP_4) | instskip(SKIP_3) | instid1(VALU_DEP_4)
	v_fma_f32 v108, 0xbeb58ec6, v147, -v103
	v_mul_f32_e32 v97, 0x3f116cb1, v100
	v_dual_mul_f32 v120, 0xbf3f9e67, v100 :: v_dual_add_f32 v79, v82, v79
	v_dual_add_f32 v83, v82, v83 :: v_dual_add_f32 v72, v101, v72
	v_add_f32_e32 v74, v108, v74
	s_delay_alu instid0(VALU_DEP_4)
	v_fmamk_f32 v101, v148, 0xbf52af12, v97
	v_mul_f32_e32 v113, 0xbf788fa5, v100
	v_fmamk_f32 v108, v148, 0x3f29c268, v120
	v_fma_f32 v78, 0xbeb58ec6, v134, -v107
	v_mul_f32_e32 v118, 0x3f29c268, v45
	v_mul_f32_e32 v129, 0x3f7e222b, v45
	s_delay_alu instid0(VALU_DEP_4) | instskip(SKIP_3) | instid1(VALU_DEP_3)
	v_dual_mul_f32 v136, 0x3eedf032, v45 :: v_dual_add_f32 v79, v108, v79
	v_add_f32_e32 v108, v59, v65
	v_dual_add_f32 v73, v101, v73 :: v_dual_mul_f32 v146, 0x3f62ad3f, v100
	v_dual_fmamk_f32 v101, v148, 0xbe750f2a, v113 :: v_dual_add_f32 v78, v81, v78
	v_dual_mul_f32 v159, 0xbf3f9e67, v108 :: v_dual_sub_f32 v170, v68, v62
	v_mul_f32_e32 v145, 0x3f116cb1, v108
	s_delay_alu instid0(VALU_DEP_3)
	v_add_f32_e32 v77, v101, v77
	v_fma_f32 v101, 0xbf3f9e67, v147, -v118
	v_mul_f32_e32 v105, 0xbeb58ec6, v100
	v_mul_f32_e32 v132, 0x3f62ad3f, v108
	global_wb scope:SCOPE_SE
	v_add_f32_e32 v156, v58, v64
	v_dual_add_f32 v78, v101, v78 :: v_dual_mul_f32 v133, 0x3df6dbef, v100
	s_barrier_signal -1
	s_barrier_wait -1
	global_inv scope:SCOPE_SE
	v_mul_f32_e32 v124, 0xbeb58ec6, v108
	v_dual_fmamk_f32 v45, v148, 0x3f7e222b, v133 :: v_dual_sub_f32 v176, v70, v60
	v_sub_f32_e32 v173, v71, v61
	v_dual_add_f32 v169, v62, v68 :: v_dual_add_f32 v174, v60, v70
	s_delay_alu instid0(VALU_DEP_3) | instskip(SKIP_3) | instid1(VALU_DEP_3)
	v_add_f32_e32 v45, v45, v83
	v_sub_f32_e32 v83, v65, v59
	v_fma_f32 v101, 0x3f62ad3f, v147, -v136
	v_fmamk_f32 v111, v148, 0xbf6f5d39, v105
	v_dual_sub_f32 v157, v64, v58 :: v_dual_mul_f32 v100, 0xbf7e222b, v83
	s_delay_alu instid0(VALU_DEP_2) | instskip(SKIP_2) | instid1(VALU_DEP_4)
	v_dual_add_f32 v84, v101, v84 :: v_dual_add_f32 v75, v111, v75
	v_mul_f32_e32 v127, 0x3eedf032, v83
	v_mul_f32_e32 v149, 0xbf29c268, v83
	v_fma_f32 v116, 0x3df6dbef, v156, -v100
	s_delay_alu instid0(VALU_DEP_1) | instskip(SKIP_3) | instid1(VALU_DEP_3)
	v_add_f32_e32 v72, v116, v72
	v_fmamk_f32 v115, v148, 0x3eedf032, v146
	v_mul_f32_e32 v112, 0xbf788fa5, v108
	v_fma_f32 v111, 0x3df6dbef, v147, -v129
	v_dual_mul_f32 v116, 0x3f6f5d39, v83 :: v_dual_add_f32 v115, v115, v106
	s_delay_alu instid0(VALU_DEP_2) | instskip(NEXT) | instid1(VALU_DEP_1)
	v_dual_fmamk_f32 v121, v157, 0xbe750f2a, v112 :: v_dual_add_f32 v44, v111, v44
	v_add_f32_e32 v75, v121, v75
	v_fma_f32 v121, 0x3f62ad3f, v156, -v127
	s_delay_alu instid0(VALU_DEP_1) | instskip(SKIP_4) | instid1(VALU_DEP_4)
	v_add_f32_e32 v78, v121, v78
	v_fmamk_f32 v121, v157, 0xbf29c268, v159
	v_mul_f32_e32 v101, 0x3df6dbef, v108
	v_fma_f32 v108, 0xbf3f9e67, v156, -v149
	v_mul_f32_e32 v111, 0xbe750f2a, v83
	v_add_f32_e32 v128, v121, v115
	s_delay_alu instid0(VALU_DEP_3) | instskip(NEXT) | instid1(VALU_DEP_3)
	v_add_f32_e32 v84, v108, v84
	v_fma_f32 v106, 0xbf788fa5, v156, -v111
	s_delay_alu instid0(VALU_DEP_1) | instskip(SKIP_2) | instid1(VALU_DEP_2)
	v_add_f32_e32 v74, v106, v74
	v_fma_f32 v106, 0xbeb58ec6, v156, -v116
	v_mul_f32_e32 v141, 0xbf52af12, v83
	v_dual_fmamk_f32 v83, v157, 0xbf52af12, v145 :: v_dual_add_f32 v76, v106, v76
	v_fmamk_f32 v117, v157, 0xbf7e222b, v101
	s_delay_alu instid0(VALU_DEP_2) | instskip(SKIP_1) | instid1(VALU_DEP_3)
	v_add_f32_e32 v45, v83, v45
	v_add_f32_e32 v83, v57, v67
	;; [unrolled: 1-line block ×3, first 2 shown]
	v_fmamk_f32 v117, v157, 0x3f6f5d39, v124
	s_delay_alu instid0(VALU_DEP_1) | instskip(SKIP_2) | instid1(VALU_DEP_2)
	v_dual_mul_f32 v138, 0x3f62ad3f, v83 :: v_dual_add_f32 v77, v117, v77
	v_sub_f32_e32 v117, v67, v57
	v_dual_add_f32 v163, v56, v66 :: v_dual_fmamk_f32 v106, v157, 0x3eedf032, v132
	v_mul_f32_e32 v126, 0x3eedf032, v117
	v_mul_f32_e32 v121, 0x3f29c268, v117
	;; [unrolled: 1-line block ×4, first 2 shown]
	v_dual_add_f32 v79, v106, v79 :: v_dual_mul_f32 v106, 0xbf6f5d39, v117
	s_delay_alu instid0(VALU_DEP_4) | instskip(SKIP_1) | instid1(VALU_DEP_4)
	v_fma_f32 v125, 0xbf3f9e67, v163, -v121
	v_mul_f32_e32 v144, 0x3df6dbef, v83
	v_fmamk_f32 v115, v165, 0xbf6f5d39, v108
	v_mul_f32_e32 v158, 0x3f52af12, v117
	s_delay_alu instid0(VALU_DEP_4) | instskip(SKIP_1) | instid1(VALU_DEP_4)
	v_dual_mul_f32 v155, 0xbf788fa5, v83 :: v_dual_add_f32 v74, v125, v74
	v_fma_f32 v123, 0x3f116cb1, v156, -v141
	v_add_f32_e32 v73, v115, v73
	v_fma_f32 v115, 0x3f62ad3f, v163, -v126
	s_delay_alu instid0(VALU_DEP_3) | instskip(SKIP_1) | instid1(VALU_DEP_3)
	v_dual_mul_f32 v167, 0x3f116cb1, v83 :: v_dual_add_f32 v44, v123, v44
	v_fma_f32 v123, 0xbeb58ec6, v163, -v106
	v_add_f32_e32 v76, v115, v76
	v_fma_f32 v115, 0x3df6dbef, v163, -v142
	s_delay_alu instid0(VALU_DEP_3) | instskip(NEXT) | instid1(VALU_DEP_2)
	v_dual_fmamk_f32 v139, v165, 0x3f52af12, v167 :: v_dual_add_f32 v72, v123, v72
	v_dual_mul_f32 v123, 0xbf3f9e67, v83 :: v_dual_add_f32 v78, v115, v78
	s_delay_alu instid0(VALU_DEP_1) | instskip(NEXT) | instid1(VALU_DEP_1)
	v_fmamk_f32 v130, v165, 0x3f29c268, v123
	v_add_f32_e32 v75, v130, v75
	v_fma_f32 v130, 0x3f116cb1, v163, -v158
	s_delay_alu instid0(VALU_DEP_1) | instskip(SKIP_2) | instid1(VALU_DEP_3)
	v_dual_add_f32 v83, v130, v84 :: v_dual_sub_f32 v84, v69, v63
	v_mul_f32_e32 v153, 0x3e750f2a, v117
	v_dual_add_f32 v130, v63, v69 :: v_dual_fmamk_f32 v137, v165, 0x3eedf032, v138
	v_mul_f32_e32 v162, 0x3eedf032, v84
	v_mul_f32_e32 v152, 0x3e750f2a, v84
	s_delay_alu instid0(VALU_DEP_4) | instskip(NEXT) | instid1(VALU_DEP_4)
	v_fma_f32 v125, 0xbf788fa5, v163, -v153
	v_mul_f32_e32 v154, 0xbf788fa5, v130
	v_fmamk_f32 v115, v165, 0x3e750f2a, v155
	v_fma_f32 v160, 0x3f62ad3f, v169, -v162
	v_mul_f32_e32 v164, 0x3f62ad3f, v130
	v_add_f32_e32 v44, v125, v44
	v_fmamk_f32 v117, v165, 0xbf7e222b, v144
	v_add_f32_e32 v45, v115, v45
	v_add_f32_e32 v139, v139, v128
	v_mul_f32_e32 v140, 0xbf52af12, v84
	v_add_f32_e32 v178, v160, v44
	v_fmamk_f32 v44, v170, 0x3eedf032, v164
	v_mul_f32_e32 v115, 0xbf29c268, v84
	v_add_f32_e32 v77, v137, v77
	v_mul_f32_e32 v125, 0x3f7e222b, v84
	v_mul_f32_e32 v168, 0xbf6f5d39, v84
	v_add_f32_e32 v84, v61, v71
	v_fma_f32 v128, 0xbf3f9e67, v169, -v115
	v_add_f32_e32 v179, v44, v45
	v_fma_f32 v150, 0x3df6dbef, v169, -v125
	s_delay_alu instid0(VALU_DEP_4) | instskip(NEXT) | instid1(VALU_DEP_4)
	v_mul_f32_e32 v177, 0x3df6dbef, v84
	v_add_f32_e32 v72, v128, v72
	v_fma_f32 v128, 0x3f116cb1, v169, -v140
	s_delay_alu instid0(VALU_DEP_4) | instskip(SKIP_2) | instid1(VALU_DEP_4)
	v_add_f32_e32 v74, v150, v74
	v_dual_mul_f32 v150, 0x3f116cb1, v130 :: v_dual_add_f32 v79, v117, v79
	v_fmamk_f32 v182, v176, 0x3f7e222b, v177
	v_dual_add_f32 v76, v128, v76 :: v_dual_mul_f32 v137, 0x3df6dbef, v130
	s_delay_alu instid0(VALU_DEP_3)
	v_fmamk_f32 v128, v170, 0xbf52af12, v150
	v_mul_f32_e32 v175, 0xbeb58ec6, v130
	v_mul_f32_e32 v117, 0xbf3f9e67, v130
	;; [unrolled: 1-line block ×3, first 2 shown]
	v_fmamk_f32 v151, v170, 0x3f7e222b, v137
	v_add_f32_e32 v77, v128, v77
	s_delay_alu instid0(VALU_DEP_3) | instskip(NEXT) | instid1(VALU_DEP_3)
	v_dual_mul_f32 v128, 0xbe750f2a, v173 :: v_dual_fmamk_f32 v45, v176, 0xbe750f2a, v130
	v_add_f32_e32 v75, v151, v75
	v_fmamk_f32 v151, v170, 0x3e750f2a, v154
	s_delay_alu instid0(VALU_DEP_3) | instskip(NEXT) | instid1(VALU_DEP_2)
	v_fma_f32 v160, 0xbf788fa5, v174, -v128
	v_add_f32_e32 v79, v151, v79
	s_delay_alu instid0(VALU_DEP_2) | instskip(SKIP_1) | instid1(VALU_DEP_2)
	v_dual_fmamk_f32 v151, v170, 0xbf6f5d39, v175 :: v_dual_add_f32 v44, v160, v72
	v_mul_f32_e32 v160, 0xbf3f9e67, v84
	v_dual_add_f32 v180, v151, v139 :: v_dual_mul_f32 v139, 0x3eedf032, v173
	v_mul_f32_e32 v151, 0xbf29c268, v173
	s_delay_alu instid0(VALU_DEP_3) | instskip(NEXT) | instid1(VALU_DEP_3)
	v_fmamk_f32 v171, v176, 0xbf29c268, v160
	v_fma_f32 v72, 0x3f62ad3f, v174, -v139
	s_delay_alu instid0(VALU_DEP_3) | instskip(NEXT) | instid1(VALU_DEP_2)
	v_fma_f32 v166, 0xbf3f9e67, v174, -v151
	v_add_f32_e32 v74, v72, v74
	s_delay_alu instid0(VALU_DEP_2) | instskip(SKIP_1) | instid1(VALU_DEP_1)
	v_add_f32_e32 v72, v166, v76
	v_mul_f32_e32 v166, 0x3f116cb1, v84
	v_dual_fmamk_f32 v76, v176, 0x3f52af12, v166 :: v_dual_mul_f32 v161, 0x3f52af12, v173
	s_delay_alu instid0(VALU_DEP_1) | instskip(SKIP_1) | instid1(VALU_DEP_1)
	v_fma_f32 v172, 0x3f116cb1, v174, -v161
	v_fmamk_f32 v143, v170, 0xbf29c268, v117
	v_add_f32_e32 v73, v143, v73
	v_fma_f32 v143, 0xbf788fa5, v169, -v152
	s_delay_alu instid0(VALU_DEP_1) | instskip(SKIP_1) | instid1(VALU_DEP_1)
	v_dual_add_f32 v45, v45, v73 :: v_dual_add_f32 v78, v143, v78
	v_fma_f32 v143, 0xbeb58ec6, v169, -v168
	v_dual_add_f32 v78, v172, v78 :: v_dual_add_f32 v83, v143, v83
	v_mul_f32_e32 v143, 0x3f62ad3f, v84
	v_dual_mul_f32 v172, 0xbeb58ec6, v84 :: v_dual_add_f32 v79, v76, v79
	s_delay_alu instid0(VALU_DEP_2) | instskip(NEXT) | instid1(VALU_DEP_1)
	v_fmamk_f32 v73, v176, 0x3eedf032, v143
	v_dual_fmamk_f32 v84, v176, 0xbf6f5d39, v172 :: v_dual_add_f32 v75, v73, v75
	v_add_f32_e32 v73, v171, v77
	v_mul_f32_e32 v171, 0xbf6f5d39, v173
	v_mul_f32_e32 v173, 0x3f7e222b, v173
	s_delay_alu instid0(VALU_DEP_2) | instskip(NEXT) | instid1(VALU_DEP_2)
	v_fma_f32 v77, 0xbeb58ec6, v174, -v171
	v_fma_f32 v181, 0x3df6dbef, v174, -v173
	s_delay_alu instid0(VALU_DEP_2) | instskip(NEXT) | instid1(VALU_DEP_2)
	v_dual_add_f32 v76, v77, v178 :: v_dual_add_f32 v77, v84, v179
	v_dual_add_f32 v83, v181, v83 :: v_dual_add_f32 v84, v182, v180
	s_and_saveexec_b32 s1, vcc_lo
	s_cbranch_execz .LBB0_17
; %bb.16:
	v_mul_f32_e32 v178, 0x3f62ad3f, v134
	v_mul_f32_e32 v180, 0x3f116cb1, v134
	;; [unrolled: 1-line block ×9, first 2 shown]
	v_dual_mul_f32 v204, 0x3f62ad3f, v156 :: v_dual_mul_f32 v225, 0x3f62ad3f, v169
	v_mul_f32_e32 v206, 0x3f116cb1, v156
	v_mul_f32_e32 v156, 0xbf3f9e67, v156
	;; [unrolled: 1-line block ×15, first 2 shown]
	s_delay_alu instid0(VALU_DEP_4)
	v_dual_mul_f32 v199, 0xbf7e222b, v157 :: v_dual_add_f32 v136, v147, v136
	v_mul_f32_e32 v193, 0xbe750f2a, v148
	v_mul_f32_e32 v201, 0xbe750f2a, v157
	;; [unrolled: 1-line block ×10, first 2 shown]
	v_dual_mul_f32 v213, 0x3eedf032, v165 :: v_dual_mul_f32 v226, 0x3eedf032, v170
	v_mul_f32_e32 v157, 0xbf29c268, v157
	v_mul_f32_e32 v181, 0xbf52af12, v135
	;; [unrolled: 1-line block ×3, first 2 shown]
	v_dual_mul_f32 v217, 0x3e750f2a, v165 :: v_dual_mul_f32 v224, 0x3e750f2a, v170
	v_mul_f32_e32 v165, 0x3f52af12, v165
	v_mul_f32_e32 v183, 0xbf7e222b, v135
	;; [unrolled: 1-line block ×4, first 2 shown]
	v_sub_f32_e32 v146, v146, v148
	v_mul_f32_e32 v218, 0xbf3f9e67, v169
	s_delay_alu instid0(VALU_DEP_4)
	v_dual_mul_f32 v148, 0xbeb58ec6, v169 :: v_dual_sub_f32 v131, v131, v135
	v_mul_f32_e32 v184, 0xbeb58ec6, v134
	v_mul_f32_e32 v135, 0xbf788fa5, v169
	;; [unrolled: 1-line block ×4, first 2 shown]
	v_dual_add_f32 v131, v82, v131 :: v_dual_mul_f32 v186, 0xbf3f9e67, v134
	v_mul_f32_e32 v134, 0xbf788fa5, v134
	v_dual_mul_f32 v230, 0xbeb58ec6, v174 :: v_dual_add_f32 v107, v184, v107
	s_delay_alu instid0(VALU_DEP_3) | instskip(NEXT) | instid1(VALU_DEP_3)
	v_dual_add_f32 v131, v146, v131 :: v_dual_sub_f32 v146, v159, v157
	v_dual_add_f32 v122, v134, v122 :: v_dual_sub_f32 v119, v119, v187
	v_add_f32_e32 v114, v186, v114
	s_delay_alu instid0(VALU_DEP_3)
	v_dual_mul_f32 v134, 0x3df6dbef, v174 :: v_dual_add_f32 v131, v146, v131
	v_dual_sub_f32 v146, v167, v165 :: v_dual_mul_f32 v231, 0xbf6f5d39, v176
	v_sub_f32_e32 v104, v104, v183
	v_dual_mul_f32 v222, 0x3f116cb1, v169 :: v_dual_add_f32 v147, v82, v119
	v_add_f32_e32 v114, v81, v114
	v_sub_f32_e32 v133, v133, v197
	v_mul_f32_e32 v220, 0x3df6dbef, v169
	v_dual_mul_f32 v169, 0xbf6f5d39, v170 :: v_dual_add_f32 v134, v134, v173
	v_dual_add_f32 v131, v146, v131 :: v_dual_add_f32 v122, v81, v122
	s_delay_alu instid0(VALU_DEP_2) | instskip(SKIP_2) | instid1(VALU_DEP_3)
	v_dual_add_f32 v133, v133, v147 :: v_dual_sub_f32 v146, v175, v169
	v_mul_f32_e32 v169, 0x3f7e222b, v176
	v_dual_mul_f32 v221, 0x3f7e222b, v170 :: v_dual_sub_f32 v110, v110, v185
	v_dual_add_f32 v122, v136, v122 :: v_dual_add_f32 v131, v146, v131
	s_delay_alu instid0(VALU_DEP_3) | instskip(SKIP_1) | instid1(VALU_DEP_4)
	v_sub_f32_e32 v146, v177, v169
	v_dual_add_f32 v107, v81, v107 :: v_dual_add_f32 v104, v82, v104
	v_dual_add_f32 v110, v82, v110 :: v_dual_sub_f32 v113, v113, v193
	s_delay_alu instid0(VALU_DEP_3) | instskip(SKIP_2) | instid1(VALU_DEP_4)
	v_add_f32_e32 v119, v146, v131
	v_add_f32_e32 v131, v156, v149
	;; [unrolled: 1-line block ×3, first 2 shown]
	v_dual_sub_f32 v99, v99, v181 :: v_dual_add_f32 v104, v113, v104
	v_mul_f32_e32 v157, 0x3f62ad3f, v174
	s_delay_alu instid0(VALU_DEP_4) | instskip(SKIP_3) | instid1(VALU_DEP_3)
	v_add_f32_e32 v122, v131, v122
	v_add_f32_e32 v131, v163, v158
	;; [unrolled: 1-line block ×3, first 2 shown]
	v_dual_mul_f32 v167, 0x3f52af12, v176 :: v_dual_add_f32 v118, v194, v118
	v_dual_sub_f32 v105, v105, v191 :: v_dual_add_f32 v122, v131, v122
	v_sub_f32_e32 v136, v145, v207
	s_delay_alu instid0(VALU_DEP_4) | instskip(SKIP_1) | instid1(VALU_DEP_3)
	v_dual_add_f32 v114, v129, v114 :: v_dual_add_f32 v129, v206, v141
	v_dual_mul_f32 v223, 0xbf52af12, v170 :: v_dual_sub_f32 v120, v120, v195
	v_add_f32_e32 v133, v136, v133
	v_sub_f32_e32 v136, v155, v217
	s_delay_alu instid0(VALU_DEP_4) | instskip(NEXT) | instid1(VALU_DEP_4)
	v_dual_add_f32 v114, v129, v114 :: v_dual_mul_f32 v159, 0x3eedf032, v176
	v_add_f32_e32 v110, v120, v110
	v_sub_f32_e32 v120, v132, v205
	s_delay_alu instid0(VALU_DEP_4) | instskip(SKIP_4) | instid1(VALU_DEP_4)
	v_dual_add_f32 v133, v136, v133 :: v_dual_mul_f32 v170, 0xbf788fa5, v174
	v_add_f32_e32 v129, v216, v153
	v_sub_f32_e32 v136, v164, v226
	v_mul_f32_e32 v228, 0xbf3f9e67, v174
	v_dual_add_f32 v110, v120, v110 :: v_dual_add_f32 v107, v118, v107
	v_add_f32_e32 v129, v129, v114
	v_add_f32_e32 v131, v148, v168
	v_sub_f32_e32 v113, v124, v203
	v_add_f32_e32 v53, v53, v82
	v_dual_mul_f32 v165, 0x3f116cb1, v174 :: v_dual_add_f32 v52, v52, v81
	s_delay_alu instid0(VALU_DEP_4) | instskip(SKIP_3) | instid1(VALU_DEP_3)
	v_dual_add_f32 v122, v131, v122 :: v_dual_add_f32 v131, v136, v133
	v_dual_sub_f32 v133, v172, v231 :: v_dual_add_f32 v136, v225, v162
	v_dual_sub_f32 v120, v144, v215 :: v_dual_mul_f32 v227, 0xbe750f2a, v176
	v_add_f32_e32 v104, v113, v104
	v_dual_add_f32 v114, v133, v131 :: v_dual_add_f32 v129, v136, v129
	s_delay_alu instid0(VALU_DEP_3) | instskip(SKIP_3) | instid1(VALU_DEP_4)
	v_dual_add_f32 v131, v230, v171 :: v_dual_add_f32 v110, v120, v110
	v_add_f32_e32 v118, v204, v127
	v_sub_f32_e32 v120, v154, v224
	v_add_f32_e32 v127, v182, v102
	v_add_f32_e32 v113, v131, v129
	v_add_f32_e32 v53, v55, v53
	s_delay_alu instid0(VALU_DEP_4) | instskip(SKIP_4) | instid1(VALU_DEP_4)
	v_dual_add_f32 v107, v118, v107 :: v_dual_add_f32 v110, v120, v110
	v_add_f32_e32 v118, v214, v142
	v_dual_sub_f32 v120, v166, v167 :: v_dual_add_f32 v55, v220, v125
	v_add_f32_e32 v103, v190, v103
	v_add_f32_e32 v116, v202, v116
	v_dual_add_f32 v107, v118, v107 :: v_dual_add_f32 v118, v135, v152
	s_delay_alu instid0(VALU_DEP_4)
	v_add_f32_e32 v102, v120, v110
	v_sub_f32_e32 v110, v150, v223
	v_add_f32_e32 v120, v165, v161
	v_add_f32_e32 v53, v65, v53
	v_add_f32_e32 v107, v118, v107
	v_add_f32_e32 v118, v81, v127
	v_dual_sub_f32 v124, v138, v213 :: v_dual_add_f32 v65, v157, v139
	s_delay_alu instid0(VALU_DEP_4) | instskip(NEXT) | instid1(VALU_DEP_2)
	v_dual_add_f32 v54, v54, v52 :: v_dual_add_f32 v53, v67, v53
	v_dual_add_f32 v109, v109, v118 :: v_dual_add_f32 v104, v124, v104
	v_add_f32_e32 v118, v82, v99
	s_delay_alu instid0(VALU_DEP_3) | instskip(NEXT) | instid1(VALU_DEP_3)
	v_dual_add_f32 v54, v64, v54 :: v_dual_add_f32 v53, v69, v53
	v_dual_sub_f32 v67, v97, v189 :: v_dual_add_f32 v104, v110, v104
	s_delay_alu instid0(VALU_DEP_3) | instskip(NEXT) | instid1(VALU_DEP_3)
	v_dual_add_f32 v105, v105, v118 :: v_dual_sub_f32 v110, v160, v229
	v_dual_add_f32 v54, v66, v54 :: v_dual_add_f32 v53, v71, v53
	v_sub_f32_e32 v64, v95, v179
	v_add_f32_e32 v66, v178, v94
	s_delay_alu instid0(VALU_DEP_4) | instskip(SKIP_3) | instid1(VALU_DEP_3)
	v_dual_add_f32 v99, v110, v104 :: v_dual_sub_f32 v110, v112, v201
	v_add_f32_e32 v98, v180, v98
	v_dual_add_f32 v54, v68, v54 :: v_dual_add_f32 v53, v61, v53
	v_add_f32_e32 v64, v82, v64
	v_dual_add_f32 v105, v110, v105 :: v_dual_add_f32 v98, v81, v98
	v_sub_f32_e32 v110, v123, v211
	s_delay_alu instid0(VALU_DEP_4) | instskip(SKIP_1) | instid1(VALU_DEP_4)
	v_dual_add_f32 v54, v70, v54 :: v_dual_add_f32 v53, v63, v53
	v_add_f32_e32 v68, v188, v96
	v_dual_add_f32 v98, v103, v98 :: v_dual_add_f32 v103, v200, v111
	s_delay_alu instid0(VALU_DEP_3) | instskip(SKIP_1) | instid1(VALU_DEP_3)
	v_dual_add_f32 v54, v60, v54 :: v_dual_add_f32 v53, v57, v53
	v_add_f32_e32 v57, v218, v115
	v_dual_sub_f32 v61, v108, v209 :: v_dual_add_f32 v98, v103, v98
	v_add_f32_e32 v103, v210, v121
	v_add_f32_e32 v104, v116, v109
	;; [unrolled: 1-line block ×4, first 2 shown]
	s_delay_alu instid0(VALU_DEP_4) | instskip(SKIP_1) | instid1(VALU_DEP_4)
	v_dual_sub_f32 v110, v137, v221 :: v_dual_add_f32 v103, v103, v98
	v_add_f32_e32 v54, v62, v54
	v_add_f32_e32 v104, v109, v104
	;; [unrolled: 1-line block ×3, first 2 shown]
	s_delay_alu instid0(VALU_DEP_4) | instskip(SKIP_1) | instid1(VALU_DEP_3)
	v_dual_add_f32 v105, v110, v105 :: v_dual_sub_f32 v110, v143, v159
	v_dual_add_f32 v66, v81, v66 :: v_dual_add_f32 v53, v59, v53
	v_add_f32_e32 v104, v109, v104
	v_add_f32_e32 v64, v67, v64
	s_delay_alu instid0(VALU_DEP_4)
	v_dual_add_f32 v52, v110, v105 :: v_dual_sub_f32 v67, v101, v199
	v_add_f32_e32 v101, v120, v107
	v_add_f32_e32 v54, v56, v54
	;; [unrolled: 1-line block ×4, first 2 shown]
	v_dual_add_f32 v62, v208, v106 :: v_dual_add_f32 v53, v49, v53
	s_delay_alu instid0(VALU_DEP_4) | instskip(SKIP_2) | instid1(VALU_DEP_3)
	v_add_f32_e32 v54, v58, v54
	v_add_f32_e32 v68, v198, v100
	v_dual_add_f32 v98, v109, v104 :: v_dual_add_f32 v55, v55, v103
	v_dual_sub_f32 v58, v130, v227 :: v_dual_add_f32 v59, v48, v54
	v_add_f32_e32 v60, v67, v64
	s_delay_alu instid0(VALU_DEP_4) | instskip(NEXT) | instid1(VALU_DEP_4)
	v_add_f32_e32 v64, v68, v66
	v_dual_add_f32 v54, v51, v53 :: v_dual_add_f32 v51, v65, v55
	s_delay_alu instid0(VALU_DEP_3) | instskip(NEXT) | instid1(VALU_DEP_3)
	v_dual_add_f32 v53, v50, v59 :: v_dual_add_f32 v60, v61, v60
	v_dual_sub_f32 v61, v117, v219 :: v_dual_add_f32 v56, v62, v64
	v_add_f32_e32 v118, v134, v122
	s_delay_alu instid0(VALU_DEP_2) | instskip(NEXT) | instid1(VALU_DEP_3)
	v_add_f32_e32 v60, v61, v60
	v_add_f32_e32 v56, v57, v56
	;; [unrolled: 1-line block ×3, first 2 shown]
	v_and_b32_e32 v61, 0xffff, v89
	s_delay_alu instid0(VALU_DEP_4) | instskip(NEXT) | instid1(VALU_DEP_3)
	v_add_f32_e32 v49, v58, v60
	v_add_f32_e32 v48, v57, v56
	s_delay_alu instid0(VALU_DEP_3)
	v_lshl_add_u32 v50, v61, 3, v87
	ds_store_2addr_b64 v50, v[53:54], v[48:49] offset1:1
	ds_store_2addr_b64 v50, v[51:52], v[98:99] offset0:2 offset1:3
	ds_store_2addr_b64 v50, v[101:102], v[113:114] offset0:4 offset1:5
	ds_store_2addr_b64 v50, v[118:119], v[83:84] offset0:6 offset1:7
	ds_store_2addr_b64 v50, v[76:77], v[78:79] offset0:8 offset1:9
	ds_store_2addr_b64 v50, v[72:73], v[74:75] offset0:10 offset1:11
	ds_store_b64 v50, v[44:45] offset:96
.LBB0_17:
	s_wait_alu 0xfffe
	s_or_b32 exec_lo, exec_lo, s1
	v_add_nc_u32_e32 v52, 0x800, v88
	v_add_nc_u32_e32 v62, 0x1000, v88
	global_wb scope:SCOPE_SE
	s_wait_dscnt 0x0
	s_barrier_signal -1
	s_barrier_wait -1
	global_inv scope:SCOPE_SE
	ds_load_2addr_b64 v[48:51], v88 offset1:143
	ds_load_2addr_b64 v[56:59], v52 offset0:30 offset1:173
	ds_load_2addr_b64 v[52:55], v62 offset0:60 offset1:203
	ds_load_b64 v[60:61], v88 offset:6864
	s_and_saveexec_b32 s1, s0
	s_cbranch_execz .LBB0_19
; %bb.18:
	v_add_nc_u32_e32 v44, 0x400, v88
	v_add_nc_u32_e32 v45, 0x1800, v88
	ds_load_b64 v[83:84], v88 offset:728
	ds_load_2addr_b64 v[72:75], v62 offset0:8 offset1:151
	ds_load_2addr_b64 v[76:79], v44 offset0:106 offset1:249
	;; [unrolled: 1-line block ×3, first 2 shown]
.LBB0_19:
	s_wait_alu 0xfffe
	s_or_b32 exec_lo, exec_lo, s1
	s_wait_dscnt 0x2
	v_dual_mul_f32 v62, v21, v51 :: v_dual_mul_f32 v63, v23, v57
	v_mul_f32_e32 v21, v21, v50
	v_mul_f32_e32 v23, v23, v56
	global_wb scope:SCOPE_SE
	s_wait_dscnt 0x0
	v_fmac_f32_e32 v62, v20, v50
	v_mul_f32_e32 v50, v19, v53
	v_fma_f32 v20, v20, v51, -v21
	v_fmac_f32_e32 v63, v22, v56
	v_fma_f32 v22, v22, v57, -v23
	v_mul_f32_e32 v23, v13, v55
	v_mul_f32_e32 v13, v13, v54
	v_dual_mul_f32 v21, v17, v59 :: v_dual_fmac_f32 v50, v18, v52
	v_mul_f32_e32 v19, v19, v52
	s_delay_alu instid0(VALU_DEP_4) | instskip(NEXT) | instid1(VALU_DEP_4)
	v_fmac_f32_e32 v23, v12, v54
	v_fma_f32 v12, v12, v55, -v13
	v_mul_f32_e32 v17, v17, v58
	v_fmac_f32_e32 v21, v16, v58
	s_barrier_signal -1
	s_barrier_wait -1
	global_inv scope:SCOPE_SE
	v_fma_f32 v16, v16, v59, -v17
	v_mul_f32_e32 v17, v15, v61
	v_mul_f32_e32 v15, v15, v60
	s_delay_alu instid0(VALU_DEP_2) | instskip(NEXT) | instid1(VALU_DEP_2)
	v_fmac_f32_e32 v17, v14, v60
	v_fma_f32 v14, v14, v61, -v15
	v_fma_f32 v15, v18, v53, -v19
	s_delay_alu instid0(VALU_DEP_2) | instskip(SKIP_1) | instid1(VALU_DEP_3)
	v_add_f32_e32 v18, v20, v14
	v_sub_f32_e32 v14, v20, v14
	v_dual_add_f32 v20, v22, v12 :: v_dual_add_f32 v51, v16, v15
	v_sub_f32_e32 v12, v22, v12
	v_dual_add_f32 v22, v21, v50 :: v_dual_sub_f32 v21, v50, v21
	s_delay_alu instid0(VALU_DEP_3) | instskip(NEXT) | instid1(VALU_DEP_4)
	v_add_f32_e32 v50, v20, v18
	v_dual_sub_f32 v53, v20, v18 :: v_dual_sub_f32 v20, v51, v20
	v_add_f32_e32 v19, v63, v23
	v_sub_f32_e32 v23, v63, v23
	v_add_f32_e32 v13, v62, v17
	s_delay_alu instid0(VALU_DEP_2) | instskip(NEXT) | instid1(VALU_DEP_2)
	v_dual_sub_f32 v15, v15, v16 :: v_dual_sub_f32 v56, v21, v23
	v_add_f32_e32 v16, v19, v13
	s_delay_alu instid0(VALU_DEP_2) | instskip(NEXT) | instid1(VALU_DEP_2)
	v_dual_sub_f32 v54, v13, v22 :: v_dual_add_f32 v55, v15, v12
	v_add_f32_e32 v16, v22, v16
	v_sub_f32_e32 v52, v19, v13
	v_sub_f32_e32 v17, v62, v17
	v_sub_f32_e32 v19, v22, v19
	v_sub_f32_e32 v57, v15, v12
	v_add_f32_e32 v22, v51, v50
	v_sub_f32_e32 v50, v12, v14
	v_add_f32_e32 v12, v48, v16
	v_dual_mul_f32 v48, 0x3f4a47b2, v54 :: v_dual_sub_f32 v15, v14, v15
	v_add_f32_e32 v14, v55, v14
	v_sub_f32_e32 v18, v18, v51
	s_delay_alu instid0(VALU_DEP_4) | instskip(SKIP_2) | instid1(VALU_DEP_4)
	v_fmamk_f32 v16, v16, 0xbf955555, v12
	v_mul_f32_e32 v55, 0x3f08b237, v57
	v_mul_f32_e32 v57, 0xbf5ff5aa, v50
	v_dual_add_f32 v13, v21, v23 :: v_dual_mul_f32 v18, 0x3f4a47b2, v18
	v_mul_f32_e32 v54, 0x3f08b237, v56
	s_delay_alu instid0(VALU_DEP_4)
	v_fma_f32 v50, 0xbf5ff5aa, v50, -v55
	v_sub_f32_e32 v21, v17, v21
	v_sub_f32_e32 v23, v23, v17
	v_add_f32_e32 v17, v13, v17
	v_add_f32_e32 v13, v49, v22
	v_fmac_f32_e32 v50, 0xbee1c552, v14
	v_dual_mul_f32 v51, 0x3d64c772, v20 :: v_dual_fmamk_f32 v20, v20, 0x3d64c772, v18
	v_fma_f32 v18, 0xbf3bfb3b, v53, -v18
	s_delay_alu instid0(VALU_DEP_2) | instskip(SKIP_2) | instid1(VALU_DEP_2)
	v_fma_f32 v51, 0x3f3bfb3b, v53, -v51
	v_fmamk_f32 v53, v15, 0xbeae86e6, v55
	v_fma_f32 v55, 0x3eae86e6, v15, -v57
	v_fmac_f32_e32 v53, 0xbee1c552, v14
	v_mul_f32_e32 v49, 0x3d64c772, v19
	v_fmamk_f32 v19, v19, 0x3d64c772, v48
	v_fma_f32 v48, 0xbf3bfb3b, v52, -v48
	v_fmac_f32_e32 v55, 0xbee1c552, v14
	s_delay_alu instid0(VALU_DEP_4) | instskip(NEXT) | instid1(VALU_DEP_3)
	v_fma_f32 v49, 0x3f3bfb3b, v52, -v49
	v_add_f32_e32 v48, v48, v16
	v_fmamk_f32 v22, v22, 0xbf955555, v13
	v_fmamk_f32 v52, v21, 0xbeae86e6, v54
	v_mul_f32_e32 v56, 0xbf5ff5aa, v23
	v_fma_f32 v23, 0xbf5ff5aa, v23, -v54
	s_delay_alu instid0(VALU_DEP_4) | instskip(NEXT) | instid1(VALU_DEP_3)
	v_dual_add_f32 v57, v20, v22 :: v_dual_add_f32 v20, v49, v16
	v_fma_f32 v54, 0x3eae86e6, v21, -v56
	v_add_f32_e32 v49, v18, v22
	s_delay_alu instid0(VALU_DEP_3) | instskip(SKIP_4) | instid1(VALU_DEP_3)
	v_sub_f32_e32 v18, v20, v50
	v_add_f32_e32 v20, v50, v20
	v_add_f32_e32 v56, v19, v16
	v_dual_fmac_f32 v52, 0xbee1c552, v17 :: v_dual_add_f32 v21, v51, v22
	v_fmac_f32_e32 v54, 0xbee1c552, v17
	v_dual_fmac_f32 v23, 0xbee1c552, v17 :: v_dual_add_f32 v14, v53, v56
	s_delay_alu instid0(VALU_DEP_3) | instskip(SKIP_1) | instid1(VALU_DEP_3)
	v_sub_f32_e32 v15, v57, v52
	v_add_f32_e32 v16, v55, v48
	v_dual_sub_f32 v22, v48, v55 :: v_dual_add_f32 v19, v23, v21
	v_dual_sub_f32 v48, v56, v53 :: v_dual_sub_f32 v17, v49, v54
	v_sub_f32_e32 v21, v21, v23
	v_add_f32_e32 v23, v54, v49
	v_add_f32_e32 v49, v52, v57
	ds_store_2addr_b64 v92, v[12:13], v[14:15] offset1:13
	ds_store_2addr_b64 v92, v[16:17], v[18:19] offset0:26 offset1:39
	ds_store_2addr_b64 v92, v[20:21], v[22:23] offset0:52 offset1:65
	ds_store_b64 v92, v[48:49] offset:624
	s_and_saveexec_b32 s1, s0
	s_cbranch_execz .LBB0_21
; %bb.20:
	v_dual_mul_f32 v12, v3, v75 :: v_dual_mul_f32 v13, v1, v73
	v_dual_mul_f32 v14, v5, v77 :: v_dual_mul_f32 v15, v11, v47
	v_mul_f32_e32 v16, v7, v79
	v_dual_mul_f32 v18, v9, v45 :: v_dual_mul_f32 v7, v7, v78
	v_mul_f32_e32 v1, v1, v72
	v_mul_f32_e32 v3, v3, v74
	v_dual_fmac_f32 v12, v2, v74 :: v_dual_fmac_f32 v13, v0, v72
	s_delay_alu instid0(VALU_DEP_4) | instskip(NEXT) | instid1(VALU_DEP_4)
	v_fmac_f32_e32 v18, v8, v44
	v_fma_f32 v0, v0, v73, -v1
	s_delay_alu instid0(VALU_DEP_4) | instskip(SKIP_3) | instid1(VALU_DEP_4)
	v_fma_f32 v2, v2, v75, -v3
	v_dual_mul_f32 v11, v11, v46 :: v_dual_fmac_f32 v14, v4, v76
	v_fmac_f32_e32 v15, v10, v46
	v_dual_sub_f32 v17, v12, v13 :: v_dual_fmac_f32 v16, v6, v78
	v_add_f32_e32 v1, v0, v2
	v_mul_f32_e32 v5, v5, v76
	v_fma_f32 v10, v10, v47, -v11
	v_fma_f32 v6, v6, v79, -v7
	v_dual_sub_f32 v11, v14, v15 :: v_dual_add_f32 v14, v15, v14
	s_delay_alu instid0(VALU_DEP_4) | instskip(SKIP_2) | instid1(VALU_DEP_4)
	v_fma_f32 v4, v4, v77, -v5
	v_add_f32_e32 v12, v13, v12
	v_add_f32_e32 v13, v18, v16
	v_dual_sub_f32 v21, v11, v17 :: v_dual_sub_f32 v2, v2, v0
	s_delay_alu instid0(VALU_DEP_4) | instskip(NEXT) | instid1(VALU_DEP_1)
	v_dual_add_f32 v7, v10, v4 :: v_dual_sub_f32 v4, v4, v10
	v_sub_f32_e32 v20, v7, v1
	s_delay_alu instid0(VALU_DEP_1) | instskip(SKIP_1) | instid1(VALU_DEP_1)
	v_mul_f32_e32 v20, 0x3f4a47b2, v20
	v_mul_f32_e32 v9, v9, v44
	v_fma_f32 v5, v8, v45, -v9
	s_delay_alu instid0(VALU_DEP_1) | instskip(SKIP_2) | instid1(VALU_DEP_3)
	v_add_f32_e32 v8, v5, v6
	v_dual_sub_f32 v9, v16, v18 :: v_dual_sub_f32 v16, v14, v12
	v_add_f32_e32 v18, v13, v14
	v_dual_sub_f32 v22, v1, v8 :: v_dual_add_f32 v3, v8, v7
	s_delay_alu instid0(VALU_DEP_3) | instskip(NEXT) | instid1(VALU_DEP_4)
	v_sub_f32_e32 v19, v17, v9
	v_dual_add_f32 v17, v17, v9 :: v_dual_mul_f32 v16, 0x3f4a47b2, v16
	v_sub_f32_e32 v9, v9, v11
	s_delay_alu instid0(VALU_DEP_4) | instskip(NEXT) | instid1(VALU_DEP_4)
	v_add_f32_e32 v3, v1, v3
	v_mul_f32_e32 v19, 0x3f08b237, v19
	s_delay_alu instid0(VALU_DEP_4)
	v_add_f32_e32 v17, v17, v11
	v_sub_f32_e32 v11, v4, v2
	v_sub_f32_e32 v5, v6, v5
	v_add_f32_e32 v1, v84, v3
	v_dual_sub_f32 v6, v12, v13 :: v_dual_fmamk_f32 v23, v21, 0xbeae86e6, v19
	v_add_f32_e32 v12, v12, v18
	v_fmamk_f32 v44, v22, 0x3d64c772, v20
	v_dual_sub_f32 v10, v2, v5 :: v_dual_sub_f32 v7, v8, v7
	s_delay_alu instid0(VALU_DEP_3) | instskip(SKIP_1) | instid1(VALU_DEP_3)
	v_dual_fmac_f32 v23, 0xbee1c552, v17 :: v_dual_add_f32 v0, v83, v12
	v_fmamk_f32 v45, v3, 0xbf955555, v1
	v_mul_f32_e32 v10, 0x3f08b237, v10
	v_mul_f32_e32 v15, 0x3d64c772, v22
	;; [unrolled: 1-line block ×3, first 2 shown]
	v_fmamk_f32 v6, v6, 0x3d64c772, v16
	v_fmamk_f32 v8, v12, 0xbf955555, v0
	v_add_f32_e32 v44, v44, v45
	v_fmamk_f32 v46, v11, 0xbeae86e6, v10
	v_add_f32_e32 v2, v2, v5
	v_mul_f32_e32 v22, 0xbf5ff5aa, v9
	v_fma_f32 v9, 0xbf5ff5aa, v9, -v19
	v_add_f32_e32 v3, v23, v44
	s_delay_alu instid0(VALU_DEP_4) | instskip(NEXT) | instid1(VALU_DEP_4)
	v_add_f32_e32 v2, v2, v4
	v_fma_f32 v12, 0x3eae86e6, v21, -v22
	v_fma_f32 v20, 0xbf3bfb3b, v7, -v20
	v_sub_f32_e32 v21, v5, v4
	v_sub_f32_e32 v13, v13, v14
	v_fmac_f32_e32 v9, 0xbee1c552, v17
	v_fmac_f32_e32 v12, 0xbee1c552, v17
	v_add_f32_e32 v14, v20, v45
	v_mul_f32_e32 v4, 0xbf5ff5aa, v21
	v_fma_f32 v16, 0xbf3bfb3b, v13, -v16
	s_delay_alu instid0(VALU_DEP_3) | instskip(NEXT) | instid1(VALU_DEP_3)
	v_dual_add_f32 v20, v6, v8 :: v_dual_add_f32 v5, v12, v14
	v_fma_f32 v6, 0x3eae86e6, v11, -v4
	v_fma_f32 v4, 0x3f3bfb3b, v7, -v15
	;; [unrolled: 1-line block ×3, first 2 shown]
	v_add_f32_e32 v16, v16, v8
	v_fma_f32 v7, 0x3f3bfb3b, v13, -v18
	v_fmac_f32_e32 v46, 0xbee1c552, v2
	v_dual_add_f32 v10, v4, v45 :: v_dual_sub_f32 v11, v14, v12
	v_fmac_f32_e32 v6, 0xbee1c552, v2
	v_fmac_f32_e32 v15, 0xbee1c552, v2
	v_mul_u32_u24_e32 v2, 0x5b, v93
	v_add_f32_e32 v17, v7, v8
	v_sub_f32_e32 v7, v10, v9
	v_add_f32_e32 v9, v9, v10
	v_dual_sub_f32 v13, v44, v23 :: v_dual_add_f32 v12, v46, v20
	v_add_nc_u32_e32 v2, v2, v91
	v_sub_f32_e32 v8, v17, v15
	v_add_f32_e32 v10, v6, v16
	v_sub_f32_e32 v4, v16, v6
	v_add_f32_e32 v6, v15, v17
	v_lshl_add_u32 v14, v2, 3, v87
	v_sub_f32_e32 v2, v20, v46
	ds_store_2addr_b64 v14, v[0:1], v[12:13] offset1:13
	ds_store_2addr_b64 v14, v[10:11], v[8:9] offset0:26 offset1:39
	ds_store_2addr_b64 v14, v[6:7], v[4:5] offset0:52 offset1:65
	ds_store_b64 v14, v[2:3] offset:624
.LBB0_21:
	s_wait_alu 0xfffe
	s_or_b32 exec_lo, exec_lo, s1
	global_wb scope:SCOPE_SE
	s_wait_dscnt 0x0
	s_barrier_signal -1
	s_barrier_wait -1
	global_inv scope:SCOPE_SE
	ds_load_2addr_b64 v[0:3], v88 offset0:91 offset1:182
	v_add_nc_u32_e32 v4, 0x800, v88
	v_add_nc_u32_e32 v8, 0xc00, v88
	s_wait_dscnt 0x0
	v_mul_f32_e32 v22, v41, v1
	v_mul_f32_e32 v23, v41, v0
	;; [unrolled: 1-line block ×4, first 2 shown]
	ds_load_2addr_b64 v[4:7], v4 offset0:17 offset1:108
	ds_load_2addr_b64 v[8:11], v8 offset0:71 offset1:162
	v_add_nc_u32_e32 v12, 0x1000, v88
	ds_load_b64 v[20:21], v88
	v_dual_fmac_f32 v41, v42, v2 :: v_dual_add_nc_u32 v16, 0x1800, v88
	v_fmac_f32_e32 v22, v40, v0
	ds_load_2addr_b64 v[12:15], v12 offset0:125 offset1:216
	v_fma_f32 v0, v40, v1, -v23
	v_fma_f32 v2, v42, v3, -v43
	s_wait_dscnt 0x3
	v_mul_f32_e32 v23, v39, v7
	v_mul_f32_e32 v3, v37, v5
	ds_load_2addr_b64 v[16:19], v16 offset0:51 offset1:142
	v_mul_f32_e32 v1, v37, v4
	v_mul_f32_e32 v37, v39, v6
	s_wait_dscnt 0x3
	v_dual_fmac_f32 v23, v38, v6 :: v_dual_mul_f32 v6, v31, v11
	v_mul_f32_e32 v39, v29, v9
	s_delay_alu instid0(VALU_DEP_2)
	v_dual_fmac_f32 v3, v36, v4 :: v_dual_fmac_f32 v6, v30, v10
	v_fma_f32 v4, v36, v5, -v1
	v_mul_f32_e32 v1, v29, v8
	v_fma_f32 v5, v38, v7, -v37
	v_fmac_f32_e32 v39, v28, v8
	s_wait_dscnt 0x2
	v_dual_add_f32 v7, v20, v22 :: v_dual_add_f32 v8, v21, v0
	v_fma_f32 v9, v28, v9, -v1
	s_wait_dscnt 0x1
	v_dual_mul_f32 v1, v31, v10 :: v_dual_mul_f32 v10, v25, v13
	s_delay_alu instid0(VALU_DEP_3) | instskip(NEXT) | instid1(VALU_DEP_2)
	v_dual_mul_f32 v25, v25, v12 :: v_dual_add_f32 v8, v8, v2
	v_fmac_f32_e32 v10, v24, v12
	v_mul_f32_e32 v12, v27, v15
	v_add_f32_e32 v7, v7, v41
	v_fma_f32 v11, v30, v11, -v1
	s_delay_alu instid0(VALU_DEP_2)
	v_dual_fmac_f32 v12, v26, v14 :: v_dual_add_f32 v1, v7, v3
	v_add_f32_e32 v7, v8, v4
	v_fma_f32 v8, v24, v13, -v25
	s_wait_dscnt 0x0
	v_dual_mul_f32 v13, v27, v14 :: v_dual_mul_f32 v24, v33, v17
	v_mul_f32_e32 v14, v35, v18
	s_delay_alu instid0(VALU_DEP_2) | instskip(NEXT) | instid1(VALU_DEP_3)
	v_fma_f32 v13, v26, v15, -v13
	v_dual_fmac_f32 v24, v32, v16 :: v_dual_mul_f32 v15, v35, v19
	v_mul_f32_e32 v16, v33, v16
	s_delay_alu instid0(VALU_DEP_4) | instskip(NEXT) | instid1(VALU_DEP_3)
	v_fma_f32 v14, v34, v19, -v14
	v_fmac_f32_e32 v15, v34, v18
	s_delay_alu instid0(VALU_DEP_3) | instskip(NEXT) | instid1(VALU_DEP_3)
	v_fma_f32 v16, v32, v17, -v16
	v_sub_f32_e32 v17, v0, v14
	s_delay_alu instid0(VALU_DEP_3) | instskip(NEXT) | instid1(VALU_DEP_2)
	v_dual_add_f32 v19, v0, v14 :: v_dual_add_f32 v18, v22, v15
	v_dual_sub_f32 v40, v2, v16 :: v_dual_mul_f32 v25, 0xbf0a6770, v17
	v_add_f32_e32 v1, v1, v23
	s_delay_alu instid0(VALU_DEP_3) | instskip(SKIP_1) | instid1(VALU_DEP_3)
	v_mul_f32_e32 v28, 0x3ed4b147, v19
	v_dual_mul_f32 v29, 0xbf7d64f0, v17 :: v_dual_add_f32 v2, v2, v16
	v_dual_fmamk_f32 v26, v18, 0x3f575c64, v25 :: v_dual_add_f32 v1, v1, v39
	s_delay_alu instid0(VALU_DEP_2) | instskip(SKIP_1) | instid1(VALU_DEP_3)
	v_fmamk_f32 v32, v18, 0xbe11bafb, v29
	v_fma_f32 v29, 0xbe11bafb, v18, -v29
	v_add_f32_e32 v26, v20, v26
	s_delay_alu instid0(VALU_DEP_4) | instskip(NEXT) | instid1(VALU_DEP_4)
	v_add_f32_e32 v1, v1, v6
	v_dual_mul_f32 v43, 0xbf75a155, v2 :: v_dual_add_f32 v32, v20, v32
	v_fma_f32 v25, 0x3f575c64, v18, -v25
	v_add_f32_e32 v29, v20, v29
	s_delay_alu instid0(VALU_DEP_4) | instskip(NEXT) | instid1(VALU_DEP_3)
	v_add_f32_e32 v1, v1, v10
	v_add_f32_e32 v25, v20, v25
	s_delay_alu instid0(VALU_DEP_2) | instskip(NEXT) | instid1(VALU_DEP_1)
	v_add_f32_e32 v1, v1, v12
	v_dual_add_f32 v7, v7, v5 :: v_dual_add_f32 v0, v1, v24
	s_delay_alu instid0(VALU_DEP_1) | instskip(NEXT) | instid1(VALU_DEP_1)
	v_dual_add_f32 v7, v7, v9 :: v_dual_add_f32 v0, v0, v15
	v_add_f32_e32 v7, v7, v11
	s_delay_alu instid0(VALU_DEP_1) | instskip(NEXT) | instid1(VALU_DEP_1)
	v_add_f32_e32 v7, v7, v8
	v_add_f32_e32 v7, v7, v13
	s_delay_alu instid0(VALU_DEP_1) | instskip(SKIP_1) | instid1(VALU_DEP_1)
	v_add_f32_e32 v1, v7, v16
	v_dual_sub_f32 v7, v22, v15 :: v_dual_add_f32 v16, v41, v24
	v_fmamk_f32 v30, v7, 0x3f68dda4, v28
	v_fmac_f32_e32 v28, 0xbf68dda4, v7
	s_delay_alu instid0(VALU_DEP_4) | instskip(SKIP_1) | instid1(VALU_DEP_4)
	v_dual_mul_f32 v34, 0xbf4178ce, v17 :: v_dual_add_f32 v1, v1, v14
	v_mul_f32_e32 v14, 0xbf68dda4, v17
	v_add_f32_e32 v30, v21, v30
	s_delay_alu instid0(VALU_DEP_4) | instskip(NEXT) | instid1(VALU_DEP_4)
	v_add_f32_e32 v28, v21, v28
	v_fmamk_f32 v36, v18, 0xbf27a4f4, v34
	v_mul_f32_e32 v22, 0x3f575c64, v19
	v_fma_f32 v34, 0xbf27a4f4, v18, -v34
	v_mul_f32_e32 v31, 0xbe11bafb, v19
	s_delay_alu instid0(VALU_DEP_4) | instskip(NEXT) | instid1(VALU_DEP_3)
	v_dual_mul_f32 v35, 0xbf27a4f4, v19 :: v_dual_add_f32 v36, v20, v36
	v_dual_fmamk_f32 v15, v7, 0x3f0a6770, v22 :: v_dual_add_f32 v34, v20, v34
	v_fmac_f32_e32 v22, 0xbf0a6770, v7
	v_mul_f32_e32 v19, 0xbf75a155, v19
	v_fmamk_f32 v33, v7, 0x3f7d64f0, v31
	v_fmac_f32_e32 v31, 0xbf7d64f0, v7
	ds_store_b64 v90, v[0:1]
	v_dual_add_f32 v22, v21, v22 :: v_dual_mul_f32 v17, 0xbe903f40, v17
	v_dual_add_f32 v15, v21, v15 :: v_dual_fmamk_f32 v42, v7, 0x3e903f40, v19
	v_add_nc_u32_e32 v1, 0x1000, v90
	v_add_nc_u32_e32 v0, 0x800, v90
	s_delay_alu instid0(VALU_DEP_4)
	v_fmamk_f32 v38, v18, 0xbf75a155, v17
	v_fmamk_f32 v27, v18, 0x3ed4b147, v14
	v_fma_f32 v14, 0x3ed4b147, v18, -v14
	v_fma_f32 v17, 0xbf75a155, v18, -v17
	v_mul_f32_e32 v18, 0xbf68dda4, v40
	v_add_f32_e32 v38, v20, v38
	v_add_f32_e32 v27, v20, v27
	v_dual_fmamk_f32 v37, v7, 0x3f4178ce, v35 :: v_dual_add_f32 v14, v20, v14
	v_fmac_f32_e32 v35, 0xbf4178ce, v7
	v_fmac_f32_e32 v19, 0xbe903f40, v7
	v_sub_f32_e32 v7, v41, v24
	s_delay_alu instid0(VALU_DEP_4) | instskip(SKIP_4) | instid1(VALU_DEP_4)
	v_add_f32_e32 v37, v21, v37
	v_dual_add_f32 v41, v21, v42 :: v_dual_fmamk_f32 v42, v16, 0x3ed4b147, v18
	v_mul_f32_e32 v24, 0x3ed4b147, v2
	v_fma_f32 v18, 0x3ed4b147, v16, -v18
	v_add_f32_e32 v35, v21, v35
	v_dual_add_f32 v17, v20, v17 :: v_dual_add_f32 v26, v42, v26
	v_add_f32_e32 v33, v21, v33
	v_dual_add_f32 v19, v21, v19 :: v_dual_fmamk_f32 v20, v7, 0x3f68dda4, v24
	v_fmac_f32_e32 v24, 0xbf68dda4, v7
	v_mul_f32_e32 v42, 0xbf27a4f4, v2
	v_dual_add_f32 v18, v18, v25 :: v_dual_add_f32 v31, v21, v31
	v_mul_f32_e32 v21, 0xbf4178ce, v40
	v_add_f32_e32 v15, v20, v15
	v_add_f32_e32 v22, v24, v22
	v_mul_f32_e32 v24, 0x3e903f40, v40
	s_delay_alu instid0(VALU_DEP_4) | instskip(NEXT) | instid1(VALU_DEP_1)
	v_fmamk_f32 v20, v16, 0xbf27a4f4, v21
	v_add_f32_e32 v20, v20, v27
	s_delay_alu instid0(VALU_DEP_3) | instskip(SKIP_1) | instid1(VALU_DEP_2)
	v_fmamk_f32 v27, v16, 0xbf75a155, v24
	v_fma_f32 v24, 0xbf75a155, v16, -v24
	v_dual_add_f32 v27, v27, v32 :: v_dual_mul_f32 v32, 0xbe11bafb, v2
	v_fmamk_f32 v25, v7, 0x3f4178ce, v42
	v_fmac_f32_e32 v42, 0xbf4178ce, v7
	v_fma_f32 v21, 0xbf27a4f4, v16, -v21
	s_delay_alu instid0(VALU_DEP_4) | instskip(NEXT) | instid1(VALU_DEP_4)
	v_dual_add_f32 v24, v24, v29 :: v_dual_fmamk_f32 v29, v7, 0xbf7d64f0, v32
	v_dual_add_f32 v25, v25, v30 :: v_dual_mul_f32 v30, 0x3f7d64f0, v40
	v_mul_f32_e32 v40, 0x3f0a6770, v40
	s_delay_alu instid0(VALU_DEP_4) | instskip(SKIP_3) | instid1(VALU_DEP_3)
	v_dual_add_f32 v14, v21, v14 :: v_dual_add_f32 v21, v42, v28
	v_fmac_f32_e32 v32, 0x3f7d64f0, v7
	v_fmamk_f32 v28, v7, 0xbe903f40, v43
	v_mul_f32_e32 v2, 0x3f575c64, v2
	v_add_f32_e32 v32, v32, v35
	s_delay_alu instid0(VALU_DEP_3) | instskip(SKIP_2) | instid1(VALU_DEP_1)
	v_add_f32_e32 v28, v28, v33
	v_fmamk_f32 v33, v16, 0xbe11bafb, v30
	v_fma_f32 v30, 0xbe11bafb, v16, -v30
	v_add_f32_e32 v30, v30, v34
	v_dual_sub_f32 v34, v4, v13 :: v_dual_fmac_f32 v43, 0x3e903f40, v7
	v_add_f32_e32 v4, v4, v13
	v_add_f32_e32 v29, v29, v37
	;; [unrolled: 1-line block ×3, first 2 shown]
	v_sub_f32_e32 v3, v3, v12
	s_delay_alu instid0(VALU_DEP_4) | instskip(SKIP_2) | instid1(VALU_DEP_2)
	v_dual_add_f32 v31, v43, v31 :: v_dual_mul_f32 v12, 0xbe11bafb, v4
	v_dual_add_f32 v33, v33, v36 :: v_dual_fmamk_f32 v36, v16, 0x3f575c64, v40
	v_fma_f32 v13, 0x3f575c64, v16, -v40
	v_dual_add_f32 v35, v36, v38 :: v_dual_fmamk_f32 v36, v7, 0xbf0a6770, v2
	v_fmac_f32_e32 v2, 0x3f0a6770, v7
	v_mul_f32_e32 v38, 0xbf7d64f0, v34
	s_delay_alu instid0(VALU_DEP_3) | instskip(NEXT) | instid1(VALU_DEP_2)
	v_add_f32_e32 v16, v36, v41
	v_dual_add_f32 v2, v2, v19 :: v_dual_fmamk_f32 v7, v37, 0xbe11bafb, v38
	s_delay_alu instid0(VALU_DEP_1) | instskip(SKIP_2) | instid1(VALU_DEP_2)
	v_dual_mul_f32 v36, 0xbf75a155, v4 :: v_dual_add_f32 v7, v7, v26
	v_fma_f32 v26, 0xbe11bafb, v37, -v38
	v_mul_f32_e32 v38, 0x3f575c64, v4
	v_dual_add_f32 v18, v26, v18 :: v_dual_add_f32 v13, v13, v17
	v_fmamk_f32 v17, v3, 0x3f7d64f0, v12
	v_mul_f32_e32 v19, 0x3e903f40, v34
	v_fmac_f32_e32 v12, 0xbf7d64f0, v3
	s_delay_alu instid0(VALU_DEP_1) | instskip(SKIP_4) | instid1(VALU_DEP_1)
	v_dual_add_f32 v15, v17, v15 :: v_dual_add_f32 v12, v12, v22
	v_fmamk_f32 v22, v3, 0xbe903f40, v36
	v_fmac_f32_e32 v36, 0x3e903f40, v3
	v_fmamk_f32 v17, v37, 0xbf75a155, v19
	v_fma_f32 v19, 0xbf75a155, v37, -v19
	v_add_f32_e32 v14, v19, v14
	s_delay_alu instid0(VALU_DEP_3) | instskip(SKIP_1) | instid1(VALU_DEP_2)
	v_dual_mul_f32 v26, 0x3f68dda4, v34 :: v_dual_add_f32 v17, v17, v20
	v_dual_add_f32 v20, v22, v25 :: v_dual_mul_f32 v25, 0x3ed4b147, v4
	v_dual_fmamk_f32 v22, v37, 0x3ed4b147, v26 :: v_dual_add_f32 v19, v36, v21
	v_fma_f32 v26, 0x3ed4b147, v37, -v26
	s_delay_alu instid0(VALU_DEP_2) | instskip(NEXT) | instid1(VALU_DEP_2)
	v_dual_mul_f32 v21, 0xbf0a6770, v34 :: v_dual_add_f32 v22, v22, v27
	v_add_f32_e32 v24, v26, v24
	s_delay_alu instid0(VALU_DEP_2) | instskip(SKIP_2) | instid1(VALU_DEP_2)
	v_fmamk_f32 v36, v37, 0x3f575c64, v21
	v_fmamk_f32 v27, v3, 0xbf68dda4, v25
	v_fma_f32 v21, 0x3f575c64, v37, -v21
	v_dual_add_f32 v26, v36, v33 :: v_dual_add_f32 v27, v27, v28
	s_delay_alu instid0(VALU_DEP_2) | instskip(NEXT) | instid1(VALU_DEP_1)
	v_dual_fmamk_f32 v28, v3, 0x3f0a6770, v38 :: v_dual_add_f32 v21, v21, v30
	v_dual_fmac_f32 v25, 0x3f68dda4, v3 :: v_dual_add_f32 v28, v28, v29
	s_delay_alu instid0(VALU_DEP_1) | instskip(SKIP_1) | instid1(VALU_DEP_1)
	v_add_f32_e32 v25, v25, v31
	v_fmac_f32_e32 v38, 0xbf0a6770, v3
	v_dual_mul_f32 v31, 0xbf4178ce, v34 :: v_dual_add_f32 v30, v38, v32
	s_delay_alu instid0(VALU_DEP_1) | instskip(SKIP_3) | instid1(VALU_DEP_4)
	v_dual_mul_f32 v4, 0xbf27a4f4, v4 :: v_dual_fmamk_f32 v29, v37, 0xbf27a4f4, v31
	v_sub_f32_e32 v32, v5, v8
	v_add_f32_e32 v5, v5, v8
	v_fma_f32 v31, 0xbf27a4f4, v37, -v31
	v_fmamk_f32 v33, v3, 0x3f4178ce, v4
	s_delay_alu instid0(VALU_DEP_4) | instskip(SKIP_1) | instid1(VALU_DEP_3)
	v_dual_add_f32 v29, v29, v35 :: v_dual_mul_f32 v8, 0xbf4178ce, v32
	v_dual_fmac_f32 v4, 0xbf4178ce, v3 :: v_dual_sub_f32 v3, v23, v10
	v_dual_add_f32 v16, v33, v16 :: v_dual_add_f32 v33, v23, v10
	v_mul_f32_e32 v10, 0xbf27a4f4, v5
	s_delay_alu instid0(VALU_DEP_3) | instskip(NEXT) | instid1(VALU_DEP_3)
	v_dual_add_f32 v13, v31, v13 :: v_dual_add_f32 v2, v4, v2
	v_fmamk_f32 v23, v33, 0xbf27a4f4, v8
	v_mul_f32_e32 v4, 0x3f7d64f0, v32
	v_fma_f32 v8, 0xbf27a4f4, v33, -v8
	v_fmamk_f32 v31, v3, 0x3f4178ce, v10
	v_fmac_f32_e32 v10, 0xbf4178ce, v3
	v_add_f32_e32 v7, v23, v7
	s_delay_alu instid0(VALU_DEP_4) | instskip(SKIP_1) | instid1(VALU_DEP_4)
	v_dual_fmamk_f32 v23, v33, 0xbe11bafb, v4 :: v_dual_add_f32 v8, v8, v18
	v_fma_f32 v4, 0xbe11bafb, v33, -v4
	v_add_f32_e32 v10, v10, v12
	s_delay_alu instid0(VALU_DEP_3) | instskip(SKIP_3) | instid1(VALU_DEP_4)
	v_dual_add_f32 v12, v23, v17 :: v_dual_mul_f32 v17, 0xbf0a6770, v32
	v_add_f32_e32 v15, v31, v15
	v_mul_f32_e32 v31, 0xbe11bafb, v5
	v_dual_mul_f32 v23, 0x3f575c64, v5 :: v_dual_add_f32 v14, v4, v14
	v_fmamk_f32 v34, v33, 0x3f575c64, v17
	v_fma_f32 v17, 0x3f575c64, v33, -v17
	s_delay_alu instid0(VALU_DEP_3) | instskip(NEXT) | instid1(VALU_DEP_2)
	v_fmamk_f32 v4, v3, 0x3f0a6770, v23
	v_dual_fmamk_f32 v18, v3, 0xbf7d64f0, v31 :: v_dual_add_f32 v17, v17, v24
	s_delay_alu instid0(VALU_DEP_2) | instskip(NEXT) | instid1(VALU_DEP_2)
	v_dual_mul_f32 v24, 0x3f68dda4, v32 :: v_dual_add_f32 v27, v4, v27
	v_dual_add_f32 v18, v18, v20 :: v_dual_fmac_f32 v31, 0x3f7d64f0, v3
	v_add_f32_e32 v20, v34, v22
	v_mul_f32_e32 v22, 0xbe903f40, v32
	v_mul_f32_e32 v4, 0xbf75a155, v5
	;; [unrolled: 1-line block ×3, first 2 shown]
	v_add_f32_e32 v19, v31, v19
	s_delay_alu instid0(VALU_DEP_4) | instskip(SKIP_2) | instid1(VALU_DEP_3)
	v_dual_sub_f32 v32, v39, v6 :: v_dual_fmamk_f32 v31, v33, 0xbf75a155, v22
	v_fmac_f32_e32 v23, 0xbf0a6770, v3
	v_fma_f32 v22, 0xbf75a155, v33, -v22
	v_add_f32_e32 v26, v31, v26
	s_delay_alu instid0(VALU_DEP_3) | instskip(SKIP_1) | instid1(VALU_DEP_4)
	v_add_f32_e32 v23, v23, v25
	v_fmamk_f32 v25, v3, 0x3e903f40, v4
	v_dual_fmac_f32 v4, 0xbe903f40, v3 :: v_dual_add_f32 v21, v22, v21
	v_fmamk_f32 v31, v33, 0x3ed4b147, v24
	v_fma_f32 v24, 0x3ed4b147, v33, -v24
	s_delay_alu instid0(VALU_DEP_3) | instskip(NEXT) | instid1(VALU_DEP_3)
	v_dual_add_f32 v22, v4, v30 :: v_dual_add_f32 v25, v25, v28
	v_dual_add_f32 v28, v31, v29 :: v_dual_sub_f32 v29, v9, v11
	v_add_f32_e32 v30, v9, v11
	v_fmamk_f32 v4, v3, 0xbf68dda4, v5
	v_dual_add_f32 v31, v39, v6 :: v_dual_add_f32 v24, v24, v13
	v_fmac_f32_e32 v5, 0x3f68dda4, v3
	v_mul_f32_e32 v9, 0xbe903f40, v29
	v_mul_f32_e32 v13, 0x3f575c64, v30
	s_delay_alu instid0(VALU_DEP_3) | instskip(NEXT) | instid1(VALU_DEP_3)
	v_add_f32_e32 v2, v5, v2
	v_fma_f32 v5, 0xbf75a155, v31, -v9
	s_delay_alu instid0(VALU_DEP_1)
	v_dual_add_f32 v5, v5, v8 :: v_dual_mul_f32 v6, 0xbf75a155, v30
	v_add_f32_e32 v33, v4, v16
	v_fmamk_f32 v8, v32, 0xbf0a6770, v13
	v_mul_f32_e32 v11, 0x3f0a6770, v29
	v_fmac_f32_e32 v13, 0x3f0a6770, v32
	v_fmamk_f32 v4, v32, 0x3e903f40, v6
	s_delay_alu instid0(VALU_DEP_4) | instskip(NEXT) | instid1(VALU_DEP_4)
	v_dual_fmamk_f32 v3, v31, 0xbf75a155, v9 :: v_dual_add_f32 v8, v8, v18
	v_fma_f32 v9, 0x3f575c64, v31, -v11
	v_fmac_f32_e32 v6, 0xbe903f40, v32
	s_delay_alu instid0(VALU_DEP_4) | instskip(NEXT) | instid1(VALU_DEP_4)
	v_add_f32_e32 v4, v4, v15
	v_add_f32_e32 v3, v3, v7
	v_fmamk_f32 v7, v31, 0x3f575c64, v11
	v_mul_f32_e32 v16, 0xbf27a4f4, v30
	v_add_f32_e32 v9, v9, v14
	v_add_f32_e32 v6, v6, v10
	s_delay_alu instid0(VALU_DEP_4)
	v_dual_add_f32 v10, v13, v19 :: v_dual_add_f32 v7, v7, v12
	v_mul_f32_e32 v15, 0xbf4178ce, v29
	v_fmamk_f32 v12, v32, 0x3f4178ce, v16
	v_mul_f32_e32 v18, 0x3f68dda4, v29
	v_fmac_f32_e32 v16, 0xbf4178ce, v32
	v_mul_f32_e32 v19, 0x3ed4b147, v30
	v_fma_f32 v13, 0xbf27a4f4, v31, -v15
	s_delay_alu instid0(VALU_DEP_3) | instskip(NEXT) | instid1(VALU_DEP_3)
	v_add_f32_e32 v14, v16, v23
	v_fmamk_f32 v16, v32, 0xbf68dda4, v19
	v_fmamk_f32 v11, v31, 0xbf27a4f4, v15
	;; [unrolled: 1-line block ×3, first 2 shown]
	v_add_f32_e32 v13, v13, v17
	v_dual_mul_f32 v23, 0xbe11bafb, v30 :: v_dual_add_f32 v12, v12, v27
	s_delay_alu instid0(VALU_DEP_3) | instskip(SKIP_2) | instid1(VALU_DEP_2)
	v_add_f32_e32 v15, v15, v26
	v_fma_f32 v17, 0x3ed4b147, v31, -v18
	v_mul_f32_e32 v18, 0xbf7d64f0, v29
	v_add_f32_e32 v17, v17, v21
	v_dual_add_f32 v16, v16, v25 :: v_dual_add_f32 v11, v11, v20
	v_fmamk_f32 v21, v32, 0x3f7d64f0, v23
	v_fmac_f32_e32 v23, 0xbf7d64f0, v32
	v_fmac_f32_e32 v19, 0x3f68dda4, v32
	v_fmamk_f32 v20, v31, 0xbe11bafb, v18
	v_fma_f32 v25, 0xbe11bafb, v31, -v18
	s_delay_alu instid0(VALU_DEP_3) | instskip(NEXT) | instid1(VALU_DEP_3)
	v_add_f32_e32 v18, v19, v22
	v_dual_add_f32 v22, v23, v2 :: v_dual_add_f32 v19, v20, v28
	v_add_f32_e32 v20, v21, v33
	s_delay_alu instid0(VALU_DEP_4)
	v_dual_add_f32 v21, v25, v24 :: v_dual_add_nc_u32 v2, 0x1800, v90
	v_add_nc_u32_e32 v23, 0xc00, v90
	ds_store_2addr_b64 v90, v[3:4], v[7:8] offset0:91 offset1:182
	ds_store_2addr_b64 v0, v[11:12], v[15:16] offset0:17 offset1:108
	;; [unrolled: 1-line block ×5, first 2 shown]
	global_wb scope:SCOPE_SE
	s_wait_dscnt 0x0
	s_barrier_signal -1
	s_barrier_wait -1
	global_inv scope:SCOPE_SE
	s_and_b32 exec_lo, exec_lo, vcc_lo
	s_cbranch_execz .LBB0_23
; %bb.22:
	s_clause 0xb
	global_load_b64 v[27:28], v85, s[8:9]
	global_load_b64 v[29:30], v85, s[8:9] offset:616
	global_load_b64 v[31:32], v85, s[8:9] offset:1232
	;; [unrolled: 1-line block ×11, first 2 shown]
	v_mad_co_u64_u32 v[15:16], null, s6, v80, 0
	v_mad_co_u64_u32 v[51:52], null, s4, v86, 0
	ds_load_b64 v[53:54], v90
	s_mov_b32 s2, 0x27a3ee9c
	s_mov_b32 s3, 0x3f505e1d
	v_dual_mov_b32 v3, v16 :: v_dual_add_nc_u32 v8, 0x400, v90
	s_mul_u64 s[0:1], s[4:5], 0x268
	s_delay_alu instid0(VALU_DEP_1)
	v_mad_co_u64_u32 v[11:12], null, s7, v80, v[3:4]
	v_mov_b32_e32 v7, v52
	ds_load_2addr_b64 v[3:6], v90 offset0:77 offset1:154
	v_mov_b32_e32 v16, v11
	v_mad_co_u64_u32 v[17:18], null, s5, v86, v[7:8]
	ds_load_2addr_b64 v[7:10], v8 offset0:103 offset1:180
	ds_load_2addr_b64 v[11:14], v0 offset0:129 offset1:206
	v_add_nc_u32_e32 v0, 0x1400, v90
	v_lshlrev_b64_e32 v[55:56], 3, v[15:16]
	v_mov_b32_e32 v52, v17
	ds_load_2addr_b64 v[15:18], v1 offset0:27 offset1:104
	ds_load_2addr_b64 v[19:22], v2 offset0:79 offset1:156
	;; [unrolled: 1-line block ×3, first 2 shown]
	v_add_co_u32 v55, vcc_lo, s12, v55
	v_lshlrev_b64_e32 v[0:1], 3, v[51:52]
	s_wait_alu 0xfffd
	v_add_co_ci_u32_e32 v56, vcc_lo, s13, v56, vcc_lo
	s_delay_alu instid0(VALU_DEP_2) | instskip(SKIP_1) | instid1(VALU_DEP_2)
	v_add_co_u32 v0, vcc_lo, v55, v0
	s_wait_alu 0xfffd
	v_add_co_ci_u32_e32 v1, vcc_lo, v56, v1, vcc_lo
	s_wait_loadcnt_dscnt 0xb06
	v_mul_f32_e32 v2, v54, v28
	s_wait_loadcnt_dscnt 0xa05
	v_dual_mul_f32 v28, v53, v28 :: v_dual_mul_f32 v51, v4, v30
	v_mul_f32_e32 v30, v3, v30
	s_wait_loadcnt 0x9
	v_mul_f32_e32 v52, v6, v32
	s_wait_loadcnt_dscnt 0x804
	v_dual_mul_f32 v32, v5, v32 :: v_dual_mul_f32 v57, v8, v34
	v_mul_f32_e32 v34, v7, v34
	s_wait_loadcnt 0x7
	v_mul_f32_e32 v58, v10, v36
	s_wait_loadcnt_dscnt 0x603
	v_dual_mul_f32 v36, v9, v36 :: v_dual_mul_f32 v59, v12, v38
	v_fmac_f32_e32 v57, v7, v33
	v_mul_f32_e32 v38, v11, v38
	v_fmac_f32_e32 v2, v53, v27
	v_fma_f32 v27, v27, v54, -v28
	s_wait_loadcnt 0x5
	v_dual_mul_f32 v60, v14, v40 :: v_dual_fmac_f32 v59, v11, v37
	s_wait_loadcnt_dscnt 0x402
	v_dual_mul_f32 v61, v16, v42 :: v_dual_mul_f32 v40, v13, v40
	v_fmac_f32_e32 v51, v3, v29
	v_fma_f32 v28, v29, v4, -v30
	v_mul_f32_e32 v42, v15, v42
	s_delay_alu instid0(VALU_DEP_4)
	v_fmac_f32_e32 v61, v15, v41
	s_wait_loadcnt_dscnt 0x200
	v_dual_mul_f32 v63, v24, v46 :: v_dual_fmac_f32 v52, v5, v31
	v_fma_f32 v29, v31, v6, -v32
	s_wait_loadcnt 0x0
	v_dual_mul_f32 v62, v18, v44 :: v_dual_mul_f32 v65, v20, v50
	s_delay_alu instid0(VALU_DEP_3) | instskip(SKIP_2) | instid1(VALU_DEP_4)
	v_dual_fmac_f32 v63, v23, v45 :: v_dual_mul_f32 v44, v17, v44
	v_fma_f32 v30, v33, v8, -v34
	v_mul_f32_e32 v46, v23, v46
	v_dual_fmac_f32 v65, v19, v49 :: v_dual_fmac_f32 v58, v9, v35
	v_fma_f32 v31, v35, v10, -v36
	v_mul_f32_e32 v64, v26, v48
	v_mul_f32_e32 v48, v25, v48
	v_fma_f32 v32, v37, v12, -v38
	v_cvt_f64_f32_e32 v[2:3], v2
	v_cvt_f64_f32_e32 v[4:5], v27
	v_mul_f32_e32 v50, v19, v50
	v_fmac_f32_e32 v60, v13, v39
	v_fma_f32 v33, v39, v14, -v40
	v_cvt_f64_f32_e32 v[6:7], v51
	v_cvt_f64_f32_e32 v[8:9], v28
	v_fma_f32 v35, v41, v16, -v42
	v_cvt_f64_f32_e32 v[10:11], v52
	v_cvt_f64_f32_e32 v[12:13], v29
	v_fmac_f32_e32 v62, v17, v43
	v_fma_f32 v39, v43, v18, -v44
	v_cvt_f64_f32_e32 v[14:15], v57
	v_cvt_f64_f32_e32 v[16:17], v30
	v_fma_f32 v43, v45, v24, -v46
	v_cvt_f64_f32_e32 v[18:19], v58
	v_cvt_f64_f32_e32 v[23:24], v31
	;; [unrolled: 7-line block ×3, first 2 shown]
	v_cvt_f64_f32_e32 v[33:34], v61
	v_cvt_f64_f32_e32 v[35:36], v35
	v_cvt_f64_f32_e32 v[37:38], v62
	v_cvt_f64_f32_e32 v[39:40], v39
	v_cvt_f64_f32_e32 v[41:42], v63
	v_cvt_f64_f32_e32 v[43:44], v43
	v_cvt_f64_f32_e32 v[45:46], v64
	v_cvt_f64_f32_e32 v[47:48], v47
	v_cvt_f64_f32_e32 v[49:50], v65
	v_cvt_f64_f32_e32 v[51:52], v20
	s_wait_alu 0xfffe
	v_add_co_u32 v53, vcc_lo, v0, s0
	s_wait_alu 0xfffd
	v_add_co_ci_u32_e32 v54, vcc_lo, s1, v1, vcc_lo
	v_mul_f64_e32 v[2:3], s[2:3], v[2:3]
	v_mul_f64_e32 v[4:5], s[2:3], v[4:5]
	v_add_co_u32 v55, vcc_lo, v53, s0
	s_wait_alu 0xfffd
	v_add_co_ci_u32_e32 v56, vcc_lo, s1, v54, vcc_lo
	v_mul_f64_e32 v[6:7], s[2:3], v[6:7]
	v_mul_f64_e32 v[8:9], s[2:3], v[8:9]
	;; [unrolled: 1-line block ×4, first 2 shown]
	v_add_co_u32 v57, vcc_lo, v55, s0
	v_mul_f64_e32 v[14:15], s[2:3], v[14:15]
	v_mul_f64_e32 v[16:17], s[2:3], v[16:17]
	s_wait_alu 0xfffd
	v_add_co_ci_u32_e32 v58, vcc_lo, s1, v56, vcc_lo
	v_mul_f64_e32 v[18:19], s[2:3], v[18:19]
	v_mul_f64_e32 v[23:24], s[2:3], v[23:24]
	v_add_co_u32 v59, vcc_lo, v57, s0
	v_mul_f64_e32 v[25:26], s[2:3], v[25:26]
	v_mul_f64_e32 v[27:28], s[2:3], v[27:28]
	;; [unrolled: 1-line block ×14, first 2 shown]
	s_wait_alu 0xfffd
	v_add_co_ci_u32_e32 v60, vcc_lo, s1, v58, vcc_lo
	v_add_co_u32 v61, vcc_lo, v59, s0
	v_cvt_f32_f64_e32 v2, v[2:3]
	v_cvt_f32_f64_e32 v3, v[4:5]
	s_wait_alu 0xfffd
	v_add_co_ci_u32_e32 v62, vcc_lo, s1, v60, vcc_lo
	v_cvt_f32_f64_e32 v4, v[6:7]
	v_cvt_f32_f64_e32 v5, v[8:9]
	;; [unrolled: 1-line block ×22, first 2 shown]
	v_add_co_u32 v29, vcc_lo, v61, s0
	s_wait_alu 0xfffd
	v_add_co_ci_u32_e32 v30, vcc_lo, s1, v62, vcc_lo
	s_delay_alu instid0(VALU_DEP_2) | instskip(SKIP_1) | instid1(VALU_DEP_2)
	v_add_co_u32 v31, vcc_lo, v29, s0
	s_wait_alu 0xfffd
	v_add_co_ci_u32_e32 v32, vcc_lo, s1, v30, vcc_lo
	s_delay_alu instid0(VALU_DEP_2) | instskip(SKIP_1) | instid1(VALU_DEP_2)
	;; [unrolled: 4-line block ×5, first 2 shown]
	v_add_co_u32 v39, vcc_lo, v37, s0
	s_wait_alu 0xfffd
	v_add_co_ci_u32_e32 v40, vcc_lo, s1, v38, vcc_lo
	s_clause 0x4
	global_store_b64 v[0:1], v[2:3], off
	global_store_b64 v[53:54], v[4:5], off
	;; [unrolled: 1-line block ×12, first 2 shown]
	global_load_b64 v[0:1], v85, s[8:9] offset:7392
	s_wait_loadcnt 0x0
	v_mul_f32_e32 v2, v22, v1
	v_mul_f32_e32 v1, v21, v1
	s_delay_alu instid0(VALU_DEP_2) | instskip(NEXT) | instid1(VALU_DEP_2)
	v_fmac_f32_e32 v2, v21, v0
	v_fma_f32 v3, v0, v22, -v1
	s_delay_alu instid0(VALU_DEP_2) | instskip(NEXT) | instid1(VALU_DEP_2)
	v_cvt_f64_f32_e32 v[0:1], v2
	v_cvt_f64_f32_e32 v[2:3], v3
	s_delay_alu instid0(VALU_DEP_2) | instskip(NEXT) | instid1(VALU_DEP_2)
	v_mul_f64_e32 v[0:1], s[2:3], v[0:1]
	v_mul_f64_e32 v[2:3], s[2:3], v[2:3]
	s_delay_alu instid0(VALU_DEP_2) | instskip(NEXT) | instid1(VALU_DEP_2)
	v_cvt_f32_f64_e32 v0, v[0:1]
	v_cvt_f32_f64_e32 v1, v[2:3]
	v_add_co_u32 v2, vcc_lo, v39, s0
	s_wait_alu 0xfffd
	v_add_co_ci_u32_e32 v3, vcc_lo, s1, v40, vcc_lo
	global_store_b64 v[2:3], v[0:1], off
.LBB0_23:
	s_nop 0
	s_sendmsg sendmsg(MSG_DEALLOC_VGPRS)
	s_endpgm
	.section	.rodata,"a",@progbits
	.p2align	6, 0x0
	.amdhsa_kernel bluestein_single_fwd_len1001_dim1_sp_op_CI_CI
		.amdhsa_group_segment_fixed_size 16016
		.amdhsa_private_segment_fixed_size 0
		.amdhsa_kernarg_size 104
		.amdhsa_user_sgpr_count 2
		.amdhsa_user_sgpr_dispatch_ptr 0
		.amdhsa_user_sgpr_queue_ptr 0
		.amdhsa_user_sgpr_kernarg_segment_ptr 1
		.amdhsa_user_sgpr_dispatch_id 0
		.amdhsa_user_sgpr_private_segment_size 0
		.amdhsa_wavefront_size32 1
		.amdhsa_uses_dynamic_stack 0
		.amdhsa_enable_private_segment 0
		.amdhsa_system_sgpr_workgroup_id_x 1
		.amdhsa_system_sgpr_workgroup_id_y 0
		.amdhsa_system_sgpr_workgroup_id_z 0
		.amdhsa_system_sgpr_workgroup_info 0
		.amdhsa_system_vgpr_workitem_id 0
		.amdhsa_next_free_vgpr 232
		.amdhsa_next_free_sgpr 14
		.amdhsa_reserve_vcc 1
		.amdhsa_float_round_mode_32 0
		.amdhsa_float_round_mode_16_64 0
		.amdhsa_float_denorm_mode_32 3
		.amdhsa_float_denorm_mode_16_64 3
		.amdhsa_fp16_overflow 0
		.amdhsa_workgroup_processor_mode 1
		.amdhsa_memory_ordered 1
		.amdhsa_forward_progress 0
		.amdhsa_round_robin_scheduling 0
		.amdhsa_exception_fp_ieee_invalid_op 0
		.amdhsa_exception_fp_denorm_src 0
		.amdhsa_exception_fp_ieee_div_zero 0
		.amdhsa_exception_fp_ieee_overflow 0
		.amdhsa_exception_fp_ieee_underflow 0
		.amdhsa_exception_fp_ieee_inexact 0
		.amdhsa_exception_int_div_zero 0
	.end_amdhsa_kernel
	.text
.Lfunc_end0:
	.size	bluestein_single_fwd_len1001_dim1_sp_op_CI_CI, .Lfunc_end0-bluestein_single_fwd_len1001_dim1_sp_op_CI_CI
                                        ; -- End function
	.section	.AMDGPU.csdata,"",@progbits
; Kernel info:
; codeLenInByte = 18492
; NumSgprs: 16
; NumVgprs: 232
; ScratchSize: 0
; MemoryBound: 0
; FloatMode: 240
; IeeeMode: 1
; LDSByteSize: 16016 bytes/workgroup (compile time only)
; SGPRBlocks: 1
; VGPRBlocks: 28
; NumSGPRsForWavesPerEU: 16
; NumVGPRsForWavesPerEU: 232
; Occupancy: 6
; WaveLimiterHint : 1
; COMPUTE_PGM_RSRC2:SCRATCH_EN: 0
; COMPUTE_PGM_RSRC2:USER_SGPR: 2
; COMPUTE_PGM_RSRC2:TRAP_HANDLER: 0
; COMPUTE_PGM_RSRC2:TGID_X_EN: 1
; COMPUTE_PGM_RSRC2:TGID_Y_EN: 0
; COMPUTE_PGM_RSRC2:TGID_Z_EN: 0
; COMPUTE_PGM_RSRC2:TIDIG_COMP_CNT: 0
	.text
	.p2alignl 7, 3214868480
	.fill 96, 4, 3214868480
	.type	__hip_cuid_e5a3ce83ae4b0c19,@object ; @__hip_cuid_e5a3ce83ae4b0c19
	.section	.bss,"aw",@nobits
	.globl	__hip_cuid_e5a3ce83ae4b0c19
__hip_cuid_e5a3ce83ae4b0c19:
	.byte	0                               ; 0x0
	.size	__hip_cuid_e5a3ce83ae4b0c19, 1

	.ident	"AMD clang version 19.0.0git (https://github.com/RadeonOpenCompute/llvm-project roc-6.4.0 25133 c7fe45cf4b819c5991fe208aaa96edf142730f1d)"
	.section	".note.GNU-stack","",@progbits
	.addrsig
	.addrsig_sym __hip_cuid_e5a3ce83ae4b0c19
	.amdgpu_metadata
---
amdhsa.kernels:
  - .args:
      - .actual_access:  read_only
        .address_space:  global
        .offset:         0
        .size:           8
        .value_kind:     global_buffer
      - .actual_access:  read_only
        .address_space:  global
        .offset:         8
        .size:           8
        .value_kind:     global_buffer
      - .actual_access:  read_only
        .address_space:  global
        .offset:         16
        .size:           8
        .value_kind:     global_buffer
      - .actual_access:  read_only
        .address_space:  global
        .offset:         24
        .size:           8
        .value_kind:     global_buffer
      - .actual_access:  read_only
        .address_space:  global
        .offset:         32
        .size:           8
        .value_kind:     global_buffer
      - .offset:         40
        .size:           8
        .value_kind:     by_value
      - .address_space:  global
        .offset:         48
        .size:           8
        .value_kind:     global_buffer
      - .address_space:  global
        .offset:         56
        .size:           8
        .value_kind:     global_buffer
      - .address_space:  global
        .offset:         64
        .size:           8
        .value_kind:     global_buffer
      - .address_space:  global
        .offset:         72
        .size:           8
        .value_kind:     global_buffer
      - .offset:         80
        .size:           4
        .value_kind:     by_value
      - .address_space:  global
        .offset:         88
        .size:           8
        .value_kind:     global_buffer
      - .address_space:  global
        .offset:         96
        .size:           8
        .value_kind:     global_buffer
    .group_segment_fixed_size: 16016
    .kernarg_segment_align: 8
    .kernarg_segment_size: 104
    .language:       OpenCL C
    .language_version:
      - 2
      - 0
    .max_flat_workgroup_size: 182
    .name:           bluestein_single_fwd_len1001_dim1_sp_op_CI_CI
    .private_segment_fixed_size: 0
    .sgpr_count:     16
    .sgpr_spill_count: 0
    .symbol:         bluestein_single_fwd_len1001_dim1_sp_op_CI_CI.kd
    .uniform_work_group_size: 1
    .uses_dynamic_stack: false
    .vgpr_count:     232
    .vgpr_spill_count: 0
    .wavefront_size: 32
    .workgroup_processor_mode: 1
amdhsa.target:   amdgcn-amd-amdhsa--gfx1201
amdhsa.version:
  - 1
  - 2
...

	.end_amdgpu_metadata
